;; amdgpu-corpus repo=ROCm/rocFFT kind=compiled arch=gfx906 opt=O3
	.text
	.amdgcn_target "amdgcn-amd-amdhsa--gfx906"
	.amdhsa_code_object_version 6
	.protected	fft_rtc_back_len1925_factors_7_11_5_5_wgs_55_tpt_55_halfLds_dp_op_CI_CI_unitstride_sbrr_dirReg ; -- Begin function fft_rtc_back_len1925_factors_7_11_5_5_wgs_55_tpt_55_halfLds_dp_op_CI_CI_unitstride_sbrr_dirReg
	.globl	fft_rtc_back_len1925_factors_7_11_5_5_wgs_55_tpt_55_halfLds_dp_op_CI_CI_unitstride_sbrr_dirReg
	.p2align	8
	.type	fft_rtc_back_len1925_factors_7_11_5_5_wgs_55_tpt_55_halfLds_dp_op_CI_CI_unitstride_sbrr_dirReg,@function
fft_rtc_back_len1925_factors_7_11_5_5_wgs_55_tpt_55_halfLds_dp_op_CI_CI_unitstride_sbrr_dirReg: ; @fft_rtc_back_len1925_factors_7_11_5_5_wgs_55_tpt_55_halfLds_dp_op_CI_CI_unitstride_sbrr_dirReg
; %bb.0:
	s_load_dwordx4 s[8:11], s[4:5], 0x58
	s_load_dwordx4 s[12:15], s[4:5], 0x0
	;; [unrolled: 1-line block ×3, first 2 shown]
	s_mov_b64 s[42:43], s[2:3]
	s_mov_b64 s[40:41], s[0:1]
	v_mul_u32_u24_e32 v1, 0x4a8, v0
	s_waitcnt lgkmcnt(0)
	v_cmp_lt_u64_e64 s[0:1], s[14:15], 2
	s_add_u32 s40, s40, s7
	v_add_u32_sdwa v6, s6, v1 dst_sel:DWORD dst_unused:UNUSED_PAD src0_sel:DWORD src1_sel:WORD_1
	v_mov_b32_e32 v1, 0
	v_mov_b32_e32 v4, 0
	s_addc_u32 s41, s41, 0
	v_mov_b32_e32 v7, v1
	s_and_b64 vcc, exec, s[0:1]
	v_mov_b32_e32 v5, 0
	s_cbranch_vccnz .LBB0_8
; %bb.1:
	s_load_dwordx2 s[0:1], s[4:5], 0x10
	s_add_u32 s2, s18, 8
	s_addc_u32 s3, s19, 0
	s_add_u32 s6, s16, 8
	v_mov_b32_e32 v4, 0
	s_addc_u32 s7, s17, 0
	v_mov_b32_e32 v5, 0
	s_waitcnt lgkmcnt(0)
	s_add_u32 s20, s0, 8
	v_mov_b32_e32 v225, v5
	s_addc_u32 s21, s1, 0
	s_mov_b64 s[22:23], 1
	v_mov_b32_e32 v224, v4
.LBB0_2:                                ; =>This Inner Loop Header: Depth=1
	s_load_dwordx2 s[24:25], s[20:21], 0x0
                                        ; implicit-def: $vgpr226_vgpr227
	s_waitcnt lgkmcnt(0)
	v_or_b32_e32 v2, s25, v7
	v_cmp_ne_u64_e32 vcc, 0, v[1:2]
	s_and_saveexec_b64 s[0:1], vcc
	s_xor_b64 s[26:27], exec, s[0:1]
	s_cbranch_execz .LBB0_4
; %bb.3:                                ;   in Loop: Header=BB0_2 Depth=1
	v_cvt_f32_u32_e32 v2, s24
	v_cvt_f32_u32_e32 v3, s25
	s_sub_u32 s0, 0, s24
	s_subb_u32 s1, 0, s25
	v_mac_f32_e32 v2, 0x4f800000, v3
	v_rcp_f32_e32 v2, v2
	v_mul_f32_e32 v2, 0x5f7ffffc, v2
	v_mul_f32_e32 v3, 0x2f800000, v2
	v_trunc_f32_e32 v3, v3
	v_mac_f32_e32 v2, 0xcf800000, v3
	v_cvt_u32_f32_e32 v3, v3
	v_cvt_u32_f32_e32 v2, v2
	v_mul_lo_u32 v8, s0, v3
	v_mul_hi_u32 v9, s0, v2
	v_mul_lo_u32 v11, s1, v2
	v_mul_lo_u32 v10, s0, v2
	v_add_u32_e32 v8, v9, v8
	v_add_u32_e32 v8, v8, v11
	v_mul_hi_u32 v9, v2, v10
	v_mul_lo_u32 v11, v2, v8
	v_mul_hi_u32 v13, v2, v8
	v_mul_hi_u32 v12, v3, v10
	v_mul_lo_u32 v10, v3, v10
	v_mul_hi_u32 v14, v3, v8
	v_add_co_u32_e32 v9, vcc, v9, v11
	v_addc_co_u32_e32 v11, vcc, 0, v13, vcc
	v_mul_lo_u32 v8, v3, v8
	v_add_co_u32_e32 v9, vcc, v9, v10
	v_addc_co_u32_e32 v9, vcc, v11, v12, vcc
	v_addc_co_u32_e32 v10, vcc, 0, v14, vcc
	v_add_co_u32_e32 v8, vcc, v9, v8
	v_addc_co_u32_e32 v9, vcc, 0, v10, vcc
	v_add_co_u32_e32 v2, vcc, v2, v8
	v_addc_co_u32_e32 v3, vcc, v3, v9, vcc
	v_mul_lo_u32 v8, s0, v3
	v_mul_hi_u32 v9, s0, v2
	v_mul_lo_u32 v10, s1, v2
	v_mul_lo_u32 v11, s0, v2
	v_add_u32_e32 v8, v9, v8
	v_add_u32_e32 v8, v8, v10
	v_mul_lo_u32 v12, v2, v8
	v_mul_hi_u32 v13, v2, v11
	v_mul_hi_u32 v14, v2, v8
	;; [unrolled: 1-line block ×3, first 2 shown]
	v_mul_lo_u32 v11, v3, v11
	v_mul_hi_u32 v9, v3, v8
	v_add_co_u32_e32 v12, vcc, v13, v12
	v_addc_co_u32_e32 v13, vcc, 0, v14, vcc
	v_mul_lo_u32 v8, v3, v8
	v_add_co_u32_e32 v11, vcc, v12, v11
	v_addc_co_u32_e32 v10, vcc, v13, v10, vcc
	v_addc_co_u32_e32 v9, vcc, 0, v9, vcc
	v_add_co_u32_e32 v8, vcc, v10, v8
	v_addc_co_u32_e32 v9, vcc, 0, v9, vcc
	v_add_co_u32_e32 v8, vcc, v2, v8
	v_addc_co_u32_e32 v9, vcc, v3, v9, vcc
	v_mad_u64_u32 v[2:3], s[0:1], v6, v9, 0
	v_mul_hi_u32 v10, v6, v8
	v_add_co_u32_e32 v10, vcc, v10, v2
	v_addc_co_u32_e32 v11, vcc, 0, v3, vcc
	v_mad_u64_u32 v[2:3], s[0:1], v7, v8, 0
	v_mad_u64_u32 v[8:9], s[0:1], v7, v9, 0
	v_add_co_u32_e32 v2, vcc, v10, v2
	v_addc_co_u32_e32 v2, vcc, v11, v3, vcc
	v_addc_co_u32_e32 v3, vcc, 0, v9, vcc
	v_add_co_u32_e32 v8, vcc, v2, v8
	v_addc_co_u32_e32 v9, vcc, 0, v3, vcc
	v_mul_lo_u32 v10, s25, v8
	v_mul_lo_u32 v11, s24, v9
	v_mad_u64_u32 v[2:3], s[0:1], s24, v8, 0
	v_add3_u32 v3, v3, v11, v10
	v_sub_u32_e32 v10, v7, v3
	v_mov_b32_e32 v11, s25
	v_sub_co_u32_e32 v2, vcc, v6, v2
	v_subb_co_u32_e64 v10, s[0:1], v10, v11, vcc
	v_subrev_co_u32_e64 v11, s[0:1], s24, v2
	v_subbrev_co_u32_e64 v10, s[0:1], 0, v10, s[0:1]
	v_cmp_le_u32_e64 s[0:1], s25, v10
	v_cndmask_b32_e64 v12, 0, -1, s[0:1]
	v_cmp_le_u32_e64 s[0:1], s24, v11
	v_cndmask_b32_e64 v11, 0, -1, s[0:1]
	v_cmp_eq_u32_e64 s[0:1], s25, v10
	v_cndmask_b32_e64 v10, v12, v11, s[0:1]
	v_add_co_u32_e64 v11, s[0:1], 2, v8
	v_addc_co_u32_e64 v12, s[0:1], 0, v9, s[0:1]
	v_add_co_u32_e64 v13, s[0:1], 1, v8
	v_addc_co_u32_e64 v14, s[0:1], 0, v9, s[0:1]
	v_subb_co_u32_e32 v3, vcc, v7, v3, vcc
	v_cmp_ne_u32_e64 s[0:1], 0, v10
	v_cmp_le_u32_e32 vcc, s25, v3
	v_cndmask_b32_e64 v10, v14, v12, s[0:1]
	v_cndmask_b32_e64 v12, 0, -1, vcc
	v_cmp_le_u32_e32 vcc, s24, v2
	v_cndmask_b32_e64 v2, 0, -1, vcc
	v_cmp_eq_u32_e32 vcc, s25, v3
	v_cndmask_b32_e32 v2, v12, v2, vcc
	v_cmp_ne_u32_e32 vcc, 0, v2
	v_cndmask_b32_e64 v2, v13, v11, s[0:1]
	v_cndmask_b32_e32 v227, v9, v10, vcc
	v_cndmask_b32_e32 v226, v8, v2, vcc
.LBB0_4:                                ;   in Loop: Header=BB0_2 Depth=1
	s_andn2_saveexec_b64 s[0:1], s[26:27]
	s_cbranch_execz .LBB0_6
; %bb.5:                                ;   in Loop: Header=BB0_2 Depth=1
	v_cvt_f32_u32_e32 v2, s24
	s_sub_i32 s26, 0, s24
	v_mov_b32_e32 v227, v1
	v_rcp_iflag_f32_e32 v2, v2
	v_mul_f32_e32 v2, 0x4f7ffffe, v2
	v_cvt_u32_f32_e32 v2, v2
	v_mul_lo_u32 v3, s26, v2
	v_mul_hi_u32 v3, v2, v3
	v_add_u32_e32 v2, v2, v3
	v_mul_hi_u32 v2, v6, v2
	v_mul_lo_u32 v3, v2, s24
	v_add_u32_e32 v8, 1, v2
	v_sub_u32_e32 v3, v6, v3
	v_subrev_u32_e32 v9, s24, v3
	v_cmp_le_u32_e32 vcc, s24, v3
	v_cndmask_b32_e32 v3, v3, v9, vcc
	v_cndmask_b32_e32 v2, v2, v8, vcc
	v_add_u32_e32 v8, 1, v2
	v_cmp_le_u32_e32 vcc, s24, v3
	v_cndmask_b32_e32 v226, v2, v8, vcc
.LBB0_6:                                ;   in Loop: Header=BB0_2 Depth=1
	s_or_b64 exec, exec, s[0:1]
	v_mul_lo_u32 v8, v227, s24
	v_mul_lo_u32 v9, v226, s25
	v_mad_u64_u32 v[2:3], s[0:1], v226, s24, 0
	s_load_dwordx2 s[0:1], s[6:7], 0x0
	s_load_dwordx2 s[24:25], s[2:3], 0x0
	v_add3_u32 v3, v3, v9, v8
	v_sub_co_u32_e32 v2, vcc, v6, v2
	v_subb_co_u32_e32 v3, vcc, v7, v3, vcc
	s_waitcnt lgkmcnt(0)
	v_mul_lo_u32 v6, s0, v3
	v_mul_lo_u32 v7, s1, v2
	v_mad_u64_u32 v[4:5], s[0:1], s0, v2, v[4:5]
	v_mul_lo_u32 v3, s24, v3
	v_mul_lo_u32 v8, s25, v2
	v_mad_u64_u32 v[224:225], s[0:1], s24, v2, v[224:225]
	s_add_u32 s22, s22, 1
	s_addc_u32 s23, s23, 0
	s_add_u32 s2, s2, 8
	v_add3_u32 v225, v8, v225, v3
	s_addc_u32 s3, s3, 0
	v_mov_b32_e32 v2, s14
	s_add_u32 s6, s6, 8
	v_mov_b32_e32 v3, s15
	s_addc_u32 s7, s7, 0
	v_cmp_ge_u64_e32 vcc, s[22:23], v[2:3]
	s_add_u32 s20, s20, 8
	v_add3_u32 v5, v7, v5, v6
	s_addc_u32 s21, s21, 0
	s_cbranch_vccnz .LBB0_9
; %bb.7:                                ;   in Loop: Header=BB0_2 Depth=1
	v_mov_b32_e32 v6, v226
	v_mov_b32_e32 v7, v227
	s_branch .LBB0_2
.LBB0_8:
	v_mov_b32_e32 v225, v5
	v_mov_b32_e32 v227, v7
	;; [unrolled: 1-line block ×4, first 2 shown]
.LBB0_9:
	s_load_dwordx2 s[0:1], s[4:5], 0x28
	s_lshl_b64 s[6:7], s[14:15], 3
	s_add_u32 s2, s18, s6
	s_addc_u32 s3, s19, s7
                                        ; implicit-def: $vgpr232
	s_waitcnt lgkmcnt(0)
	v_cmp_gt_u64_e32 vcc, s[0:1], v[226:227]
	v_cmp_le_u64_e64 s[0:1], s[0:1], v[226:227]
	s_and_saveexec_b64 s[4:5], s[0:1]
	s_xor_b64 s[0:1], exec, s[4:5]
; %bb.10:
	s_mov_b32 s4, 0x4a7904b
	v_mul_hi_u32 v1, v0, s4
                                        ; implicit-def: $vgpr4_vgpr5
	v_mul_u32_u24_e32 v1, 55, v1
	v_sub_u32_e32 v232, v0, v1
                                        ; implicit-def: $vgpr0
; %bb.11:
	s_or_saveexec_b64 s[4:5], s[0:1]
                                        ; implicit-def: $vgpr130_vgpr131
                                        ; implicit-def: $vgpr122_vgpr123
                                        ; implicit-def: $vgpr118_vgpr119
                                        ; implicit-def: $vgpr114_vgpr115
                                        ; implicit-def: $vgpr98_vgpr99
                                        ; implicit-def: $vgpr66_vgpr67
                                        ; implicit-def: $vgpr6_vgpr7
                                        ; implicit-def: $vgpr170_vgpr171
                                        ; implicit-def: $vgpr166_vgpr167
                                        ; implicit-def: $vgpr150_vgpr151
                                        ; implicit-def: $vgpr154_vgpr155
                                        ; implicit-def: $vgpr90_vgpr91
                                        ; implicit-def: $vgpr126_vgpr127
                                        ; implicit-def: $vgpr2_vgpr3
                                        ; implicit-def: $vgpr186_vgpr187
                                        ; implicit-def: $vgpr178_vgpr179
                                        ; implicit-def: $vgpr174_vgpr175
                                        ; implicit-def: $vgpr110_vgpr111
                                        ; implicit-def: $vgpr134_vgpr135
                                        ; implicit-def: $vgpr62_vgpr63
                                        ; implicit-def: $vgpr70_vgpr71
                                        ; implicit-def: $vgpr202_vgpr203
                                        ; implicit-def: $vgpr198_vgpr199
                                        ; implicit-def: $vgpr194_vgpr195
                                        ; implicit-def: $vgpr138_vgpr139
                                        ; implicit-def: $vgpr102_vgpr103
                                        ; implicit-def: $vgpr106_vgpr107
                                        ; implicit-def: $vgpr40_vgpr41
                                        ; implicit-def: $vgpr222_vgpr223
                                        ; implicit-def: $vgpr218_vgpr219
                                        ; implicit-def: $vgpr214_vgpr215
                                        ; implicit-def: $vgpr210_vgpr211
                                        ; implicit-def: $vgpr146_vgpr147
                                        ; implicit-def: $vgpr206_vgpr207
                                        ; implicit-def: $vgpr94_vgpr95
	s_xor_b64 exec, exec, s[4:5]
	s_cbranch_execz .LBB0_13
; %bb.12:
	s_add_u32 s0, s16, s6
	s_addc_u32 s1, s17, s7
	s_load_dwordx2 s[0:1], s[0:1], 0x0
	s_mov_b32 s6, 0x4a7904b
	v_mul_hi_u32 v3, v0, s6
	s_waitcnt lgkmcnt(0)
	v_mul_lo_u32 v6, s1, v226
	v_mul_lo_u32 v7, s0, v227
	v_mad_u64_u32 v[1:2], s[0:1], s0, v226, 0
	v_mul_u32_u24_e32 v3, 55, v3
	v_sub_u32_e32 v232, v0, v3
	v_add3_u32 v2, v2, v7, v6
	v_lshlrev_b64 v[0:1], 4, v[1:2]
	v_mov_b32_e32 v2, s9
	v_add_co_u32_e64 v3, s[0:1], s8, v0
	v_addc_co_u32_e64 v2, s[0:1], v2, v1, s[0:1]
	v_lshlrev_b64 v[0:1], 4, v[4:5]
	v_add_co_u32_e64 v0, s[0:1], v3, v0
	v_addc_co_u32_e64 v1, s[0:1], v2, v1, s[0:1]
	v_lshlrev_b32_e32 v2, 4, v232
	v_add_co_u32_e64 v8, s[0:1], v0, v2
	v_addc_co_u32_e64 v9, s[0:1], 0, v1, s[0:1]
	s_movk_i32 s0, 0x1000
	v_add_co_u32_e64 v10, s[0:1], s0, v8
	v_addc_co_u32_e64 v11, s[0:1], 0, v9, s[0:1]
	s_movk_i32 s0, 0x2000
	;; [unrolled: 3-line block ×7, first 2 shown]
	v_add_co_u32_e64 v20, s[0:1], s0, v8
	global_load_dwordx4 v[92:95], v[8:9], off
	global_load_dwordx4 v[38:41], v[8:9], off offset:880
	global_load_dwordx4 v[144:147], v[4:5], off offset:608
	global_load_dwordx4 v[100:103], v[4:5], off offset:1488
	global_load_dwordx4 v[104:107], v[10:11], off offset:1184
	global_load_dwordx4 v[60:63], v[10:11], off offset:2064
	global_load_dwordx4 v[136:139], v[12:13], off offset:1792
	global_load_dwordx4 v[108:111], v[12:13], off offset:2672
	global_load_dwordx4 v[68:71], v[8:9], off offset:1760
	global_load_dwordx4 v[0:3], v[8:9], off offset:2640
	global_load_dwordx4 v[132:135], v[4:5], off offset:2368
	global_load_dwordx4 v[88:91], v[4:5], off offset:3248
	v_addc_co_u32_e64 v21, s[0:1], 0, v9, s[0:1]
	global_load_dwordx4 v[204:207], v[10:11], off offset:304
	global_load_dwordx4 v[4:7], v[8:9], off offset:3520
	global_load_dwordx4 v[124:127], v[10:11], off offset:2944
	global_load_dwordx4 v[64:67], v[10:11], off offset:3824
	global_load_dwordx4 v[208:211], v[12:13], off offset:912
	global_load_dwordx4 v[96:99], v[12:13], off offset:32
	global_load_dwordx4 v[212:215], v[14:15], off offset:1216
	global_load_dwordx4 v[192:195], v[14:15], off offset:2096
	global_load_dwordx4 v[172:175], v[14:15], off offset:2976
	global_load_dwordx4 v[148:151], v[14:15], off offset:3856
	global_load_dwordx4 v[152:155], v[12:13], off offset:3552
	global_load_dwordx4 v[112:115], v[14:15], off offset:336
	global_load_dwordx4 v[196:199], v[16:17], off offset:2400
	global_load_dwordx4 v[176:179], v[16:17], off offset:3280
	global_load_dwordx4 v[216:219], v[16:17], off offset:1520
                                        ; kill: killed $vgpr14 killed $vgpr15
                                        ; kill: killed $vgpr12 killed $vgpr13
                                        ; kill: killed $vgpr8 killed $vgpr9
                                        ; kill: killed $vgpr10 killed $vgpr11
	global_load_dwordx4 v[116:119], v[16:17], off offset:640
	global_load_dwordx4 v[220:223], v[18:19], off offset:1824
                                        ; kill: killed $vgpr16 killed $vgpr17
	global_load_dwordx4 v[200:203], v[18:19], off offset:2704
	global_load_dwordx4 v[164:167], v[18:19], off offset:64
	;; [unrolled: 1-line block ×6, first 2 shown]
.LBB0_13:
	s_or_b64 exec, exec, s[4:5]
	s_waitcnt vmcnt(6)
	v_add_f64 v[8:9], v[220:221], v[204:205]
	v_add_f64 v[10:11], v[216:217], v[144:145]
	;; [unrolled: 1-line block ×3, first 2 shown]
	v_add_f64 v[12:13], v[206:207], -v[222:223]
	v_add_f64 v[14:15], v[146:147], -v[218:219]
	;; [unrolled: 1-line block ×3, first 2 shown]
	s_mov_b32 s4, 0x37e14327
	s_mov_b32 s6, 0x36b3c0b5
	;; [unrolled: 1-line block ×3, first 2 shown]
	v_add_f64 v[20:21], v[10:11], v[8:9]
	v_add_f64 v[22:23], v[8:9], -v[16:17]
	s_mov_b32 s7, 0x3fac98ee
	v_add_f64 v[8:9], v[10:11], -v[8:9]
	v_add_f64 v[24:25], v[18:19], v[14:15]
	v_add_f64 v[26:27], v[18:19], -v[14:15]
	v_add_f64 v[14:15], v[14:15], -v[12:13]
	s_mov_b32 s14, 0xe976ee23
	v_add_f64 v[20:21], v[16:17], v[20:21]
	v_add_f64 v[16:17], v[16:17], -v[10:11]
	v_mul_f64 v[22:23], v[22:23], s[4:5]
	v_add_f64 v[10:11], v[12:13], -v[18:19]
	s_mov_b32 s8, 0x429ad128
	s_mov_b32 s16, 0xaaaaaaaa
	s_mov_b32 s18, 0x5476071b
	s_mov_b32 s15, 0x3fe11646
	v_add_f64 v[32:33], v[92:93], v[20:21]
	v_mul_f64 v[18:19], v[16:17], s[6:7]
	s_mov_b32 s9, 0xbfebfeb5
	s_mov_b32 s17, 0xbff2aaaa
	;; [unrolled: 1-line block ×5, first 2 shown]
	v_add_f64 v[12:13], v[24:25], v[12:13]
	v_mul_f64 v[24:25], v[26:27], s[14:15]
	v_mul_f64 v[26:27], v[14:15], s[8:9]
	v_fma_f64 v[16:17], v[16:17], s[6:7], v[22:23]
	v_fma_f64 v[20:21], v[20:21], s[16:17], v[32:33]
	v_fma_f64 v[18:19], v[8:9], s[18:19], -v[18:19]
	v_fma_f64 v[8:9], v[8:9], s[20:21], -v[22:23]
	s_mov_b32 s22, 0xb247c609
	s_mov_b32 s23, 0xbfd5d0dc
	;; [unrolled: 1-line block ×4, first 2 shown]
	v_fma_f64 v[22:23], v[10:11], s[22:23], v[24:25]
	v_fma_f64 v[14:15], v[14:15], s[8:9], -v[24:25]
	v_fma_f64 v[10:11], v[10:11], s[26:27], -v[26:27]
	v_add_f64 v[16:17], v[16:17], v[20:21]
	v_add_f64 v[18:19], v[18:19], v[20:21]
	v_add_f64 v[8:9], v[8:9], v[20:21]
	s_waitcnt vmcnt(5)
	v_add_f64 v[20:21], v[200:201], v[104:105]
	v_add_f64 v[24:25], v[196:197], v[100:101]
	s_mov_b32 s24, 0x37c3f68c
	s_mov_b32 s25, 0xbfdc38aa
	v_fma_f64 v[22:23], v[12:13], s[24:25], v[22:23]
	v_fma_f64 v[10:11], v[12:13], s[24:25], v[10:11]
	;; [unrolled: 1-line block ×3, first 2 shown]
	v_add_f64 v[14:15], v[192:193], v[136:137]
	v_add_f64 v[28:29], v[102:103], -v[198:199]
	v_add_f64 v[26:27], v[24:25], v[20:21]
	v_add_f64 v[30:31], v[194:195], -v[138:139]
	s_waitcnt vmcnt(2)
	v_add_f64 v[46:47], v[184:185], v[60:61]
	v_add_f64 v[34:35], v[22:23], v[16:17]
	v_add_f64 v[36:37], v[10:11], v[8:9]
	v_add_f64 v[42:43], v[18:19], -v[12:13]
	v_add_f64 v[12:13], v[12:13], v[18:19]
	v_add_f64 v[18:19], v[106:107], -v[202:203]
	v_add_f64 v[26:27], v[14:15], v[26:27]
	v_add_f64 v[44:45], v[20:21], -v[14:15]
	v_add_f64 v[14:15], v[14:15], -v[24:25]
	;; [unrolled: 1-line block ×4, first 2 shown]
	v_add_f64 v[16:17], v[30:31], v[28:29]
	v_add_f64 v[22:23], v[30:31], -v[28:29]
	v_add_f64 v[28:29], v[28:29], -v[18:19]
	v_add_f64 v[38:39], v[38:39], v[26:27]
	v_mul_f64 v[44:45], v[44:45], s[4:5]
	v_add_f64 v[20:21], v[24:25], -v[20:21]
	v_add_f64 v[24:25], v[18:19], -v[30:31]
	v_mul_f64 v[30:31], v[14:15], s[6:7]
	v_add_f64 v[16:17], v[16:17], v[18:19]
	v_mul_f64 v[18:19], v[22:23], s[14:15]
	v_mul_f64 v[22:23], v[28:29], s[8:9]
	v_fma_f64 v[26:27], v[26:27], s[16:17], v[38:39]
	v_fma_f64 v[14:15], v[14:15], s[6:7], v[44:45]
	v_add_f64 v[48:49], v[176:177], v[132:133]
	v_add_f64 v[50:51], v[174:175], -v[110:111]
	v_fma_f64 v[30:31], v[20:21], s[18:19], -v[30:31]
	v_fma_f64 v[20:21], v[20:21], s[20:21], -v[44:45]
	v_fma_f64 v[44:45], v[24:25], s[22:23], v[18:19]
	v_fma_f64 v[18:19], v[28:29], s[8:9], -v[18:19]
	v_fma_f64 v[22:23], v[24:25], s[26:27], -v[22:23]
	v_add_f64 v[14:15], v[14:15], v[26:27]
	v_add_f64 v[24:25], v[172:173], v[108:109]
	;; [unrolled: 1-line block ×5, first 2 shown]
	v_add_f64 v[26:27], v[134:135], -v[178:179]
	v_add_f64 v[52:53], v[62:63], -v[186:187]
	v_fma_f64 v[44:45], v[16:17], s[24:25], v[44:45]
	v_fma_f64 v[18:19], v[16:17], s[24:25], v[18:19]
	v_add_f64 v[54:55], v[46:47], -v[24:25]
	v_add_f64 v[28:29], v[24:25], v[28:29]
	v_add_f64 v[24:25], v[24:25], -v[48:49]
	v_fma_f64 v[16:17], v[16:17], s[24:25], v[22:23]
	v_add_f64 v[22:23], v[50:51], -v[26:27]
	v_add_f64 v[56:57], v[26:27], -v[52:53]
	;; [unrolled: 1-line block ×3, first 2 shown]
	v_add_f64 v[26:27], v[50:51], v[26:27]
	v_mul_f64 v[54:55], v[54:55], s[4:5]
	v_add_f64 v[48:49], v[68:69], v[28:29]
	v_mul_f64 v[58:59], v[24:25], s[6:7]
	v_add_f64 v[50:51], v[52:53], -v[50:51]
	v_mul_f64 v[22:23], v[22:23], s[14:15]
	v_mul_f64 v[68:69], v[56:57], s[8:9]
	v_add_f64 v[72:73], v[44:45], v[14:15]
	v_add_f64 v[26:27], v[26:27], v[52:53]
	v_fma_f64 v[24:25], v[24:25], s[6:7], v[54:55]
	v_fma_f64 v[28:29], v[28:29], s[16:17], v[48:49]
	v_fma_f64 v[52:53], v[46:47], s[18:19], -v[58:59]
	v_fma_f64 v[46:47], v[46:47], s[20:21], -v[54:55]
	v_fma_f64 v[54:55], v[50:51], s[22:23], v[22:23]
	v_fma_f64 v[22:23], v[56:57], s[8:9], -v[22:23]
	v_fma_f64 v[50:51], v[50:51], s[26:27], -v[68:69]
	v_add_f64 v[56:57], v[164:165], v[88:89]
	v_add_f64 v[68:69], v[30:31], -v[18:19]
	v_add_f64 v[24:25], v[24:25], v[28:29]
	v_add_f64 v[52:53], v[52:53], v[28:29]
	;; [unrolled: 1-line block ×3, first 2 shown]
	v_fma_f64 v[46:47], v[26:27], s[24:25], v[54:55]
	s_waitcnt vmcnt(1)
	v_add_f64 v[54:55], v[168:169], v[124:125]
	v_fma_f64 v[22:23], v[26:27], s[24:25], v[22:23]
	v_fma_f64 v[50:51], v[26:27], s[24:25], v[50:51]
	v_add_f64 v[18:19], v[18:19], v[30:31]
	v_add_f64 v[14:15], v[14:15], -v[44:45]
	v_add_f64 v[30:31], v[148:149], v[152:153]
	v_add_f64 v[76:77], v[90:91], -v[166:167]
	v_add_f64 v[78:79], v[150:151], -v[154:155]
	v_add_f64 v[44:45], v[56:57], v[54:55]
	v_add_f64 v[74:75], v[52:53], -v[22:23]
	v_add_f64 v[22:23], v[22:23], v[52:53]
	;; [unrolled: 2-line block ×4, first 2 shown]
	v_add_f64 v[26:27], v[50:51], v[28:29]
	v_add_f64 v[50:51], v[28:29], -v[50:51]
	v_add_f64 v[24:25], v[24:25], -v[46:47]
	v_add_f64 v[28:29], v[30:31], v[44:45]
	v_add_f64 v[44:45], v[54:55], -v[30:31]
	v_add_f64 v[30:31], v[30:31], -v[56:57]
	;; [unrolled: 3-line block ×3, first 2 shown]
	v_add_f64 v[54:55], v[56:57], -v[54:55]
	v_add_f64 v[56:57], v[52:53], -v[78:79]
	v_add_f64 v[78:79], v[0:1], v[28:29]
	v_mul_f64 v[0:1], v[44:45], s[4:5]
	v_mul_f64 v[44:45], v[30:31], s[6:7]
	v_add_f64 v[46:47], v[46:47], v[52:53]
	v_mul_f64 v[52:53], v[80:81], s[14:15]
	v_mul_f64 v[80:81], v[76:77], s[8:9]
	s_waitcnt vmcnt(0)
	v_add_f64 v[82:83], v[128:129], v[64:65]
	v_add_f64 v[84:85], v[120:121], v[96:97]
	v_fma_f64 v[28:29], v[28:29], s[16:17], v[78:79]
	v_fma_f64 v[30:31], v[30:31], s[6:7], v[0:1]
	v_fma_f64 v[44:45], v[54:55], s[18:19], -v[44:45]
	v_fma_f64 v[0:1], v[54:55], s[20:21], -v[0:1]
	v_fma_f64 v[54:55], v[56:57], s[22:23], v[52:53]
	v_fma_f64 v[52:53], v[76:77], s[8:9], -v[52:53]
	v_add_f64 v[76:77], v[116:117], v[112:113]
	v_add_f64 v[86:87], v[84:85], v[82:83]
	v_fma_f64 v[56:57], v[56:57], s[26:27], -v[80:81]
	v_add_f64 v[80:81], v[98:99], -v[122:123]
	v_add_f64 v[92:93], v[118:119], -v[114:115]
	;; [unrolled: 1-line block ×3, first 2 shown]
	v_add_f64 v[30:31], v[30:31], v[28:29]
	v_add_f64 v[44:45], v[44:45], v[28:29]
	;; [unrolled: 1-line block ×4, first 2 shown]
	v_add_f64 v[86:87], v[82:83], -v[76:77]
	v_add_f64 v[76:77], v[76:77], -v[84:85]
	;; [unrolled: 1-line block ×5, first 2 shown]
	v_add_f64 v[80:81], v[92:93], v[80:81]
	v_add_f64 v[92:93], v[140:141], -v[92:93]
	v_add_f64 v[84:85], v[4:5], v[28:29]
	v_mul_f64 v[4:5], v[86:87], s[4:5]
	v_mul_f64 v[86:87], v[76:77], s[6:7]
	;; [unrolled: 1-line block ×4, first 2 shown]
	v_fma_f64 v[54:55], v[46:47], s[24:25], v[54:55]
	v_add_f64 v[80:81], v[80:81], v[140:141]
	v_fma_f64 v[52:53], v[46:47], s[24:25], v[52:53]
	v_fma_f64 v[28:29], v[28:29], s[16:17], v[84:85]
	;; [unrolled: 1-line block ×3, first 2 shown]
	v_fma_f64 v[86:87], v[82:83], s[18:19], -v[86:87]
	v_fma_f64 v[4:5], v[82:83], s[20:21], -v[4:5]
	v_fma_f64 v[82:83], v[92:93], s[22:23], v[142:143]
	v_fma_f64 v[92:93], v[92:93], s[26:27], -v[158:159]
	v_fma_f64 v[140:141], v[156:157], s[8:9], -v[142:143]
	v_fma_f64 v[46:47], v[46:47], s[24:25], v[56:57]
	v_add_f64 v[56:57], v[54:55], v[30:31]
	v_add_f64 v[76:77], v[76:77], v[28:29]
	;; [unrolled: 1-line block ×4, first 2 shown]
	v_fma_f64 v[82:83], v[80:81], s[24:25], v[82:83]
	v_fma_f64 v[28:29], v[80:81], s[24:25], v[92:93]
	;; [unrolled: 1-line block ×3, first 2 shown]
	v_add_f64 v[140:141], v[46:47], v[0:1]
	v_add_f64 v[142:143], v[44:45], -v[52:53]
	v_add_f64 v[44:45], v[52:53], v[44:45]
	v_add_f64 v[46:47], v[0:1], -v[46:47]
	v_add_f64 v[52:53], v[30:31], -v[54:55]
	v_add_f64 v[54:55], v[82:83], v[76:77]
	v_add_f64 v[156:157], v[28:29], v[4:5]
	v_add_f64 v[158:159], v[86:87], -v[80:81]
	v_add_f64 v[80:81], v[80:81], v[86:87]
	v_add_f64 v[28:29], v[4:5], -v[28:29]
	v_add_f64 v[30:31], v[76:77], -v[82:83]
	v_mad_u32_u24 v0, v232, 56, 0
	v_lshl_add_u32 v233, v232, 3, 0
	s_load_dwordx2 s[2:3], s[2:3], 0x0
	ds_write2_b64 v0, v[32:33], v[34:35] offset1:1
	ds_write2_b64 v0, v[36:37], v[42:43] offset0:2 offset1:3
	ds_write2_b64 v0, v[12:13], v[8:9] offset0:4 offset1:5
	ds_write_b64 v0, v[10:11] offset:48
	v_add_u32_e32 v1, 0xc08, v0
	v_add_u32_e32 v4, 0xc18, v0
	v_add_u32_e32 v5, 0xc28, v0
	v_add_u32_e32 v42, 0x1810, v0
	v_add_u32_e32 v43, 0x1820, v0
	v_add_u32_e32 v92, 0x1830, v0
	v_add_u32_e32 v93, 0x2418, v0
	v_add_u32_e32 v234, 0x2428, v0
	v_add_u32_e32 v235, 0x2438, v0
	v_add_u32_e32 v236, 0x3020, v0
	v_add_u32_e32 v237, 0x3030, v0
	v_add_u32_e32 v238, 0x3040, v0
	v_add_u32_e32 v242, 0x800, v233
	v_add_u32_e32 v243, 0xc00, v233
	v_add_u32_e32 v239, 0x1000, v233
	v_add_u32_e32 v240, 0x1800, v233
	v_add_u32_e32 v244, 0x2000, v233
	v_add_u32_e32 v241, 0x2800, v233
	v_add_u32_e32 v245, 0x2c00, v233
	v_add_u32_e32 v246, 0x3400, v233
	v_add_u32_e32 v247, 0x400, v233
	ds_write2_b64 v1, v[38:39], v[72:73] offset1:1
	ds_write2_b64 v4, v[58:59], v[68:69] offset1:1
	ds_write2_b64 v5, v[18:19], v[16:17] offset1:1
	ds_write_b64 v0, v[14:15] offset:3128
	ds_write2_b64 v42, v[48:49], v[20:21] offset1:1
	ds_write2_b64 v43, v[26:27], v[74:75] offset1:1
	ds_write2_b64 v92, v[22:23], v[50:51] offset1:1
	ds_write_b64 v0, v[24:25] offset:6208
	;; [unrolled: 4-line block ×4, first 2 shown]
	s_waitcnt lgkmcnt(0)
	; wave barrier
	s_waitcnt lgkmcnt(0)
	ds_read2_b64 v[12:15], v233 offset1:55
	ds_read2_b64 v[8:11], v233 offset0:110 offset1:175
	ds_read2_b64 v[188:191], v242 offset0:94 offset1:149
	;; [unrolled: 1-line block ×13, first 2 shown]
	ds_read2_b64 v[52:55], v241 offset1:55
	v_add_u32_e32 v248, 0x3000, v233
	ds_read2_b64 v[36:39], v248 offset0:94 offset1:149
	ds_read_b64 v[230:231], v233 offset:14880
	v_cmp_gt_u32_e64 s[0:1], 10, v232
                                        ; implicit-def: $vgpr228_vgpr229
                                        ; implicit-def: $vgpr18_vgpr19
                                        ; implicit-def: $vgpr22_vgpr23
                                        ; implicit-def: $vgpr26_vgpr27
                                        ; implicit-def: $vgpr34_vgpr35
	s_and_saveexec_b64 s[28:29], s[0:1]
	s_cbranch_execz .LBB0_15
; %bb.14:
	v_add_u32_e32 v16, 0x1a00, v233
	ds_read2_b64 v[28:31], v247 offset0:37 offset1:212
	ds_read2_b64 v[32:35], v239 offset0:3 offset1:178
	;; [unrolled: 1-line block ×3, first 2 shown]
	v_add_u32_e32 v16, 0x2400, v233
	ds_read2_b64 v[20:23], v16 offset0:63 offset1:238
	ds_read2_b64 v[16:19], v248 offset0:29 offset1:204
	ds_read_b64 v[228:229], v233 offset:15320
.LBB0_15:
	s_or_b64 exec, exec, s[28:29]
	v_add_f64 v[68:69], v[222:223], v[206:207]
	v_add_f64 v[146:147], v[218:219], v[146:147]
	v_add_f64 v[144:145], v[144:145], -v[216:217]
	v_add_f64 v[206:207], v[214:215], v[210:211]
	v_add_f64 v[208:209], v[212:213], -v[208:209]
	v_add_f64 v[204:205], v[204:205], -v[220:221]
	v_add_f64 v[106:107], v[202:203], v[106:107]
	v_add_f64 v[102:103], v[198:199], v[102:103]
	;; [unrolled: 1-line block ×4, first 2 shown]
	v_add_f64 v[104:105], v[104:105], -v[200:201]
	v_add_f64 v[212:213], v[68:69], -v[206:207]
	;; [unrolled: 1-line block ×4, first 2 shown]
	v_add_f64 v[144:145], v[208:209], v[144:145]
	v_add_f64 v[208:209], v[204:205], -v[208:209]
	v_add_f64 v[68:69], v[146:147], -v[68:69]
	v_add_f64 v[210:211], v[206:207], v[210:211]
	v_add_f64 v[206:207], v[206:207], -v[146:147]
	v_mul_f64 v[212:213], v[212:213], s[4:5]
	v_mul_f64 v[214:215], v[214:215], s[14:15]
	;; [unrolled: 1-line block ×3, first 2 shown]
	v_add_f64 v[144:145], v[144:145], v[204:205]
	v_add_f64 v[100:101], v[100:101], -v[196:197]
	v_add_f64 v[136:137], v[192:193], -v[136:137]
	v_add_f64 v[94:95], v[94:95], v[210:211]
	v_mul_f64 v[146:147], v[206:207], s[6:7]
	v_fma_f64 v[204:205], v[206:207], s[6:7], v[212:213]
	v_fma_f64 v[206:207], v[208:209], s[22:23], v[214:215]
	v_fma_f64 v[202:203], v[202:203], s[8:9], -v[214:215]
	v_fma_f64 v[198:199], v[208:209], s[26:27], -v[198:199]
	v_add_f64 v[192:193], v[106:107], -v[138:139]
	v_add_f64 v[62:63], v[186:187], v[62:63]
	v_fma_f64 v[208:209], v[210:211], s[16:17], v[94:95]
	v_fma_f64 v[210:211], v[68:69], s[20:21], -v[212:213]
	v_fma_f64 v[68:69], v[68:69], s[18:19], -v[146:147]
	v_add_f64 v[146:147], v[102:103], v[106:107]
	v_fma_f64 v[194:195], v[144:145], s[24:25], v[206:207]
	v_fma_f64 v[202:203], v[144:145], s[24:25], v[202:203]
	;; [unrolled: 1-line block ×3, first 2 shown]
	v_mul_f64 v[192:193], v[192:193], s[4:5]
	v_add_f64 v[198:199], v[204:205], v[208:209]
	v_add_f64 v[134:135], v[178:179], v[134:135]
	;; [unrolled: 1-line block ×5, first 2 shown]
	v_add_f64 v[132:133], v[132:133], -v[176:177]
	v_add_f64 v[108:109], v[172:173], -v[108:109]
	;; [unrolled: 1-line block ×4, first 2 shown]
	v_add_f64 v[194:195], v[194:195], v[198:199]
	v_add_f64 v[206:207], v[202:203], v[68:69]
	v_add_f64 v[202:203], v[68:69], -v[202:203]
	v_add_f64 v[68:69], v[138:139], -v[102:103]
	v_add_f64 v[138:139], v[136:137], v[100:101]
	v_add_f64 v[198:199], v[136:137], -v[100:101]
	v_add_f64 v[100:101], v[100:101], -v[104:105]
	;; [unrolled: 3-line block ×3, first 2 shown]
	v_add_f64 v[172:173], v[62:63], -v[110:111]
	v_mul_f64 v[136:137], v[68:69], s[6:7]
	v_add_f64 v[104:105], v[138:139], v[104:105]
	v_mul_f64 v[138:139], v[198:199], s[14:15]
	v_mul_f64 v[198:199], v[100:101], s[8:9]
	v_fma_f64 v[146:147], v[146:147], s[16:17], v[40:41]
	v_fma_f64 v[68:69], v[68:69], s[6:7], v[192:193]
	v_add_f64 v[174:175], v[132:133], -v[60:61]
	v_add_f64 v[126:127], v[170:171], v[126:127]
	v_fma_f64 v[136:137], v[102:103], s[18:19], -v[136:137]
	v_fma_f64 v[102:103], v[102:103], s[20:21], -v[192:193]
	v_fma_f64 v[178:179], v[106:107], s[22:23], v[138:139]
	v_fma_f64 v[100:101], v[100:101], s[8:9], -v[138:139]
	v_fma_f64 v[106:107], v[106:107], s[26:27], -v[198:199]
	v_add_f64 v[138:139], v[134:135], v[62:63]
	v_add_f64 v[68:69], v[68:69], v[146:147]
	v_add_f64 v[62:63], v[134:135], -v[62:63]
	v_add_f64 v[136:137], v[136:137], v[146:147]
	v_add_f64 v[102:103], v[102:103], v[146:147]
	v_fma_f64 v[146:147], v[104:105], s[24:25], v[178:179]
	v_fma_f64 v[100:101], v[104:105], s[24:25], v[100:101]
	;; [unrolled: 1-line block ×3, first 2 shown]
	v_add_f64 v[138:139], v[110:111], v[138:139]
	v_add_f64 v[110:111], v[110:111], -v[134:135]
	v_add_f64 v[106:107], v[108:109], -v[132:133]
	v_add_f64 v[132:133], v[108:109], v[132:133]
	v_add_f64 v[108:109], v[60:61], -v[108:109]
	v_mul_f64 v[176:177], v[174:175], s[8:9]
	v_add_f64 v[90:91], v[166:167], v[90:91]
	v_add_f64 v[178:179], v[68:69], -v[146:147]
	v_add_f64 v[134:135], v[70:71], v[138:139]
	v_mul_f64 v[70:71], v[172:173], s[4:5]
	v_mul_f64 v[172:173], v[110:111], s[6:7]
	;; [unrolled: 1-line block ×3, first 2 shown]
	v_add_f64 v[60:61], v[132:133], v[60:61]
	v_add_f64 v[88:89], v[88:89], -v[164:165]
	v_add_f64 v[148:149], v[148:149], -v[152:153]
	;; [unrolled: 1-line block ×3, first 2 shown]
	v_fma_f64 v[132:133], v[138:139], s[16:17], v[134:135]
	v_fma_f64 v[110:111], v[110:111], s[6:7], v[70:71]
	v_fma_f64 v[138:139], v[62:63], s[18:19], -v[172:173]
	v_fma_f64 v[62:63], v[62:63], s[20:21], -v[70:71]
	v_fma_f64 v[70:71], v[108:109], s[22:23], v[106:107]
	v_fma_f64 v[108:109], v[108:109], s[26:27], -v[176:177]
	v_add_f64 v[172:173], v[102:103], -v[104:105]
	v_add_f64 v[176:177], v[100:101], v[136:137]
	v_fma_f64 v[106:107], v[174:175], s[8:9], -v[106:107]
	v_add_f64 v[110:111], v[110:111], v[132:133]
	v_add_f64 v[100:101], v[136:137], -v[100:101]
	v_add_f64 v[62:63], v[62:63], v[132:133]
	v_fma_f64 v[70:71], v[60:61], s[24:25], v[70:71]
	v_fma_f64 v[108:109], v[60:61], s[24:25], v[108:109]
	v_add_f64 v[102:103], v[104:105], v[102:103]
	v_add_f64 v[104:105], v[146:147], v[68:69]
	;; [unrolled: 1-line block ×5, first 2 shown]
	v_fma_f64 v[60:61], v[60:61], s[24:25], v[106:107]
	v_add_f64 v[106:107], v[110:111], -v[70:71]
	v_add_f64 v[132:133], v[62:63], -v[108:109]
	v_add_f64 v[62:63], v[108:109], v[62:63]
	v_add_f64 v[108:109], v[70:71], v[110:111]
	v_add_f64 v[110:111], v[126:127], -v[68:69]
	v_add_f64 v[70:71], v[68:69], v[136:137]
	v_add_f64 v[68:69], v[68:69], -v[90:91]
	;; [unrolled: 2-line block ×4, first 2 shown]
	v_add_f64 v[90:91], v[90:91], -v[126:127]
	v_add_f64 v[126:127], v[124:125], -v[148:149]
	v_add_f64 v[2:3], v[2:3], v[70:71]
	v_mul_f64 v[110:111], v[110:111], s[4:5]
	v_mul_f64 v[148:149], v[68:69], s[6:7]
	v_add_f64 v[66:67], v[130:131], v[66:67]
	v_add_f64 v[98:99], v[122:123], v[98:99]
	;; [unrolled: 1-line block ×3, first 2 shown]
	v_add_f64 v[96:97], v[96:97], -v[120:121]
	v_add_f64 v[112:113], v[116:117], -v[112:113]
	v_fma_f64 v[70:71], v[70:71], s[16:17], v[2:3]
	v_fma_f64 v[68:69], v[68:69], s[6:7], v[110:111]
	v_fma_f64 v[122:123], v[90:91], s[18:19], -v[148:149]
	v_fma_f64 v[90:91], v[90:91], s[20:21], -v[110:111]
	v_add_f64 v[118:119], v[98:99], v[66:67]
	v_add_f64 v[64:65], v[64:65], -v[128:129]
	v_add_f64 v[88:89], v[88:89], -v[124:125]
	;; [unrolled: 1-line block ×3, first 2 shown]
	v_add_f64 v[124:125], v[136:137], v[124:125]
	v_add_f64 v[68:69], v[68:69], v[70:71]
	;; [unrolled: 1-line block ×5, first 2 shown]
	v_add_f64 v[118:119], v[66:67], -v[114:115]
	v_add_f64 v[114:115], v[114:115], -v[98:99]
	;; [unrolled: 1-line block ×3, first 2 shown]
	v_mul_f64 v[136:137], v[138:139], s[14:15]
	v_mul_f64 v[138:139], v[88:89], s[8:9]
	v_add_f64 v[66:67], v[98:99], -v[66:67]
	v_add_f64 v[96:97], v[112:113], v[96:97]
	v_add_f64 v[6:7], v[6:7], v[90:91]
	v_mul_f64 v[98:99], v[118:119], s[4:5]
	v_mul_f64 v[118:119], v[114:115], s[6:7]
	v_add_f64 v[112:113], v[64:65], -v[112:113]
	v_mul_f64 v[120:121], v[120:121], s[14:15]
	v_mul_f64 v[128:129], v[122:123], s[8:9]
	v_fma_f64 v[110:111], v[126:127], s[22:23], v[136:137]
	v_fma_f64 v[88:89], v[88:89], s[8:9], -v[136:137]
	v_fma_f64 v[126:127], v[126:127], s[26:27], -v[138:139]
	v_add_f64 v[64:65], v[96:97], v[64:65]
	v_fma_f64 v[90:91], v[90:91], s[16:17], v[6:7]
	v_fma_f64 v[96:97], v[114:115], s[6:7], v[98:99]
	v_fma_f64 v[114:115], v[66:67], s[18:19], -v[118:119]
	v_fma_f64 v[66:67], v[66:67], s[20:21], -v[98:99]
	v_fma_f64 v[98:99], v[112:113], s[22:23], v[120:121]
	v_fma_f64 v[112:113], v[112:113], s[26:27], -v[128:129]
	v_fma_f64 v[118:119], v[122:123], s[8:9], -v[120:121]
	v_add_f64 v[204:205], v[210:211], v[208:209]
	v_fma_f64 v[110:111], v[124:125], s[24:25], v[110:111]
	v_fma_f64 v[88:89], v[124:125], s[24:25], v[88:89]
	;; [unrolled: 1-line block ×3, first 2 shown]
	v_add_f64 v[96:97], v[96:97], v[90:91]
	v_add_f64 v[114:115], v[114:115], v[90:91]
	;; [unrolled: 1-line block ×3, first 2 shown]
	v_fma_f64 v[90:91], v[64:65], s[24:25], v[98:99]
	v_fma_f64 v[98:99], v[64:65], s[24:25], v[112:113]
	;; [unrolled: 1-line block ×3, first 2 shown]
	v_add_f64 v[200:201], v[204:205], -v[144:145]
	v_add_f64 v[144:145], v[144:145], v[204:205]
	v_add_f64 v[122:123], v[68:69], -v[110:111]
	v_add_f64 v[112:113], v[70:71], -v[120:121]
	v_add_f64 v[118:119], v[88:89], v[116:117]
	v_add_f64 v[88:89], v[116:117], -v[88:89]
	v_add_f64 v[116:117], v[120:121], v[70:71]
	v_add_f64 v[110:111], v[110:111], v[68:69]
	v_add_f64 v[120:121], v[96:97], -v[90:91]
	v_add_f64 v[124:125], v[66:67], -v[98:99]
	v_add_f64 v[126:127], v[64:65], v[114:115]
	v_add_f64 v[64:65], v[114:115], -v[64:65]
	v_add_f64 v[68:69], v[98:99], v[66:67]
	v_add_f64 v[70:71], v[90:91], v[96:97]
	s_waitcnt lgkmcnt(0)
	; wave barrier
	s_waitcnt lgkmcnt(0)
	ds_write2_b64 v0, v[94:95], v[196:197] offset1:1
	ds_write2_b64 v0, v[200:201], v[206:207] offset0:2 offset1:3
	ds_write2_b64 v0, v[202:203], v[144:145] offset0:4 offset1:5
	ds_write_b64 v0, v[194:195] offset:48
	ds_write2_b64 v1, v[40:41], v[178:179] offset1:1
	ds_write2_b64 v4, v[172:173], v[176:177] offset1:1
	ds_write2_b64 v5, v[100:101], v[102:103] offset1:1
	ds_write_b64 v0, v[104:105] offset:3128
	ds_write2_b64 v42, v[134:135], v[106:107] offset1:1
	ds_write2_b64 v43, v[132:133], v[146:147] offset1:1
	ds_write2_b64 v92, v[60:61], v[62:63] offset1:1
	;; [unrolled: 4-line block ×4, first 2 shown]
	ds_write_b64 v0, v[70:71] offset:12368
	s_waitcnt lgkmcnt(0)
	; wave barrier
	s_waitcnt lgkmcnt(0)
	ds_read2_b64 v[4:7], v233 offset1:55
	ds_read2_b64 v[0:3], v233 offset0:110 offset1:175
	ds_read2_b64 v[148:151], v242 offset0:94 offset1:149
	;; [unrolled: 1-line block ×13, first 2 shown]
	ds_read2_b64 v[104:107], v241 offset1:55
	ds_read2_b64 v[92:95], v248 offset0:94 offset1:149
	ds_read_b64 v[176:177], v233 offset:14880
                                        ; implicit-def: $vgpr198_vgpr199
                                        ; implicit-def: $vgpr42_vgpr43
                                        ; implicit-def: $vgpr62_vgpr63
                                        ; implicit-def: $vgpr66_vgpr67
                                        ; implicit-def: $vgpr90_vgpr91
	s_and_saveexec_b64 s[4:5], s[0:1]
	s_cbranch_execz .LBB0_17
; %bb.16:
	v_add_u32_e32 v40, 0x400, v233
	ds_read2_b64 v[68:71], v40 offset0:37 offset1:212
	v_add_u32_e32 v40, 0x1000, v233
	ds_read2_b64 v[88:91], v40 offset0:3 offset1:178
	;; [unrolled: 2-line block ×5, first 2 shown]
	ds_read_b64 v[198:199], v233 offset:15320
.LBB0_17:
	s_or_b64 exec, exec, s[4:5]
	v_mov_b32_e32 v178, 37
	v_mul_lo_u16_sdwa v152, v232, v178 dst_sel:DWORD dst_unused:UNUSED_PAD src0_sel:BYTE_0 src1_sel:DWORD
	v_sub_u16_sdwa v153, v232, v152 dst_sel:DWORD dst_unused:UNUSED_PAD src0_sel:DWORD src1_sel:BYTE_1
	v_lshrrev_b16_e32 v153, 1, v153
	v_and_b32_e32 v153, 0x7f, v153
	v_add_u16_sdwa v152, v153, v152 dst_sel:DWORD dst_unused:UNUSED_PAD src0_sel:DWORD src1_sel:BYTE_1
	v_lshrrev_b16_e32 v223, 2, v152
	v_mul_lo_u16_e32 v152, 7, v223
	v_sub_u16_e32 v234, v232, v152
	v_mov_b32_e32 v179, 10
	v_mul_u32_u24_sdwa v152, v234, v179 dst_sel:DWORD dst_unused:UNUSED_PAD src0_sel:BYTE_0 src1_sel:DWORD
	v_lshlrev_b32_e32 v174, 4, v152
	global_load_dwordx4 v[170:173], v174, s[12:13] offset:48
	global_load_dwordx4 v[184:187], v174, s[12:13] offset:32
	;; [unrolled: 1-line block ×3, first 2 shown]
	global_load_dwordx4 v[192:195], v174, s[12:13]
	v_add_u32_e32 v219, 55, v232
	v_add_u32_e32 v255, 0x6e, v232
	;; [unrolled: 1-line block ×3, first 2 shown]
	s_mov_b32 s4, 0xf8bb580b
	s_mov_b32 s6, 0x8eee2c13
	;; [unrolled: 1-line block ×28, first 2 shown]
	s_waitcnt vmcnt(0) lgkmcnt(14)
	v_mul_f64 v[164:165], v[2:3], v[194:195]
	v_fma_f64 v[166:167], v[10:11], v[192:193], v[164:165]
	v_mul_f64 v[10:11], v[10:11], v[194:195]
	v_fma_f64 v[168:169], v[2:3], v[192:193], -v[10:11]
	v_mul_f64 v[2:3], v[148:149], v[154:155]
	v_fma_f64 v[164:165], v[188:189], v[152:153], v[2:3]
	v_mul_f64 v[2:3], v[188:189], v[154:155]
	v_fma_f64 v[152:153], v[148:149], v[152:153], -v[2:3]
	s_waitcnt lgkmcnt(13)
	v_mul_f64 v[2:3], v[118:119], v[186:187]
	v_fma_f64 v[154:155], v[78:79], v[184:185], v[2:3]
	v_mul_f64 v[2:3], v[78:79], v[186:187]
	v_fma_f64 v[148:149], v[118:119], v[184:185], -v[2:3]
	s_waitcnt lgkmcnt(12)
	v_mul_f64 v[2:3], v[144:145], v[172:173]
	v_fma_f64 v[118:119], v[180:181], v[170:171], v[2:3]
	v_mul_f64 v[2:3], v[180:181], v[172:173]
	v_fma_f64 v[144:145], v[144:145], v[170:171], -v[2:3]
	global_load_dwordx4 v[170:173], v174, s[12:13] offset:112
	global_load_dwordx4 v[184:187], v174, s[12:13] offset:96
	;; [unrolled: 1-line block ×4, first 2 shown]
	s_waitcnt vmcnt(1)
	v_mul_f64 v[78:79], v[160:161], v[194:195]
	s_waitcnt vmcnt(0) lgkmcnt(11)
	v_mul_f64 v[2:3], v[114:115], v[202:203]
	v_mul_f64 v[10:11], v[74:75], v[202:203]
	s_waitcnt lgkmcnt(10)
	v_fma_f64 v[78:79], v[136:137], v[192:193], -v[78:79]
	v_fma_f64 v[2:3], v[74:75], v[200:201], v[2:3]
	v_fma_f64 v[74:75], v[114:115], v[200:201], -v[10:11]
	s_waitcnt lgkmcnt(9)
	v_mul_f64 v[114:115], v[102:103], v[186:187]
	v_mul_f64 v[10:11], v[136:137], v[194:195]
	v_fma_f64 v[114:115], v[50:51], v[184:185], v[114:115]
	v_mul_f64 v[50:51], v[50:51], v[186:187]
	v_fma_f64 v[10:11], v[160:161], v[192:193], v[10:11]
	v_fma_f64 v[50:51], v[102:103], v[184:185], -v[50:51]
	s_waitcnt lgkmcnt(8)
	v_mul_f64 v[102:103], v[132:133], v[172:173]
	v_fma_f64 v[160:161], v[156:157], v[170:171], v[102:103]
	v_mul_f64 v[102:103], v[156:157], v[172:173]
	v_fma_f64 v[136:137], v[132:133], v[170:171], -v[102:103]
	global_load_dwordx4 v[170:173], v174, s[12:13] offset:144
	global_load_dwordx4 v[184:187], v174, s[12:13] offset:128
	s_waitcnt vmcnt(0) lgkmcnt(7)
	v_mul_f64 v[102:103], v[98:99], v[186:187]
	v_fma_f64 v[156:157], v[46:47], v[184:185], v[102:103]
	v_mul_f64 v[46:47], v[46:47], v[186:187]
	v_fma_f64 v[132:133], v[98:99], v[184:185], -v[46:47]
	s_waitcnt lgkmcnt(6)
	v_mul_f64 v[46:47], v[128:129], v[172:173]
	v_fma_f64 v[174:175], v[140:141], v[170:171], v[46:47]
	v_mul_f64 v[46:47], v[140:141], v[172:173]
	v_fma_f64 v[102:103], v[128:129], v[170:171], -v[46:47]
	v_mul_lo_u16_sdwa v46, v219, v178 dst_sel:DWORD dst_unused:UNUSED_PAD src0_sel:BYTE_0 src1_sel:DWORD
	v_sub_u16_sdwa v47, v219, v46 dst_sel:DWORD dst_unused:UNUSED_PAD src0_sel:DWORD src1_sel:BYTE_1
	v_lshrrev_b16_e32 v47, 1, v47
	v_and_b32_e32 v47, 0x7f, v47
	v_add_u16_sdwa v46, v47, v46 dst_sel:DWORD dst_unused:UNUSED_PAD src0_sel:DWORD src1_sel:BYTE_1
	v_lshrrev_b16_e32 v235, 2, v46
	v_mul_lo_u16_e32 v46, 7, v235
	v_sub_u16_e32 v236, v219, v46
	v_mul_u32_u24_sdwa v46, v236, v179 dst_sel:DWORD dst_unused:UNUSED_PAD src0_sel:BYTE_0 src1_sel:DWORD
	v_lshlrev_b32_e32 v196, 4, v46
	global_load_dwordx4 v[184:187], v196, s[12:13] offset:48
	global_load_dwordx4 v[192:195], v196, s[12:13] offset:32
	;; [unrolled: 1-line block ×3, first 2 shown]
	global_load_dwordx4 v[204:207], v196, s[12:13]
	s_waitcnt vmcnt(0) lgkmcnt(5)
	v_mul_f64 v[46:47], v[124:125], v[206:207]
	v_fma_f64 v[170:171], v[84:85], v[204:205], v[46:47]
	v_mul_f64 v[46:47], v[84:85], v[206:207]
	v_fma_f64 v[172:173], v[124:125], v[204:205], -v[46:47]
	v_mul_f64 v[46:47], v[150:151], v[202:203]
	v_fma_f64 v[128:129], v[190:191], v[200:201], v[46:47]
	v_mul_f64 v[46:47], v[190:191], v[202:203]
	v_fma_f64 v[140:141], v[150:151], v[200:201], -v[46:47]
	s_waitcnt lgkmcnt(4)
	v_mul_f64 v[46:47], v[120:121], v[194:195]
	v_fma_f64 v[124:125], v[80:81], v[192:193], v[46:47]
	v_mul_f64 v[46:47], v[80:81], v[194:195]
	v_mul_f64 v[80:81], v[182:183], v[186:187]
	v_fma_f64 v[120:121], v[120:121], v[192:193], -v[46:47]
	v_mul_f64 v[46:47], v[146:147], v[186:187]
	v_fma_f64 v[80:81], v[146:147], v[184:185], -v[80:81]
	v_fma_f64 v[46:47], v[182:183], v[184:185], v[46:47]
	global_load_dwordx4 v[180:183], v196, s[12:13] offset:112
	global_load_dwordx4 v[184:187], v196, s[12:13] offset:96
	;; [unrolled: 1-line block ×4, first 2 shown]
	s_waitcnt vmcnt(0) lgkmcnt(3)
	v_mul_f64 v[84:85], v[108:109], v[194:195]
	v_fma_f64 v[84:85], v[56:57], v[192:193], v[84:85]
	v_mul_f64 v[56:57], v[56:57], v[194:195]
	v_fma_f64 v[98:99], v[108:109], v[192:193], -v[56:57]
	v_mul_f64 v[108:109], v[162:163], v[190:191]
	v_mul_f64 v[56:57], v[138:139], v[190:191]
	v_fma_f64 v[108:109], v[138:139], v[188:189], -v[108:109]
	s_waitcnt lgkmcnt(2)
	v_mul_f64 v[138:139], v[104:105], v[186:187]
	v_fma_f64 v[56:57], v[162:163], v[188:189], v[56:57]
	v_add_f64 v[241:242], v[98:99], -v[108:109]
	v_fma_f64 v[138:139], v[52:53], v[184:185], v[138:139]
	v_mul_f64 v[52:53], v[52:53], v[186:187]
	v_fma_f64 v[104:105], v[104:105], v[184:185], -v[52:53]
	v_mul_f64 v[52:53], v[134:135], v[182:183]
	v_fma_f64 v[146:147], v[158:159], v[180:181], v[52:53]
	v_mul_f64 v[52:53], v[158:159], v[182:183]
	v_fma_f64 v[134:135], v[134:135], v[180:181], -v[52:53]
	global_load_dwordx4 v[180:183], v196, s[12:13] offset:144
	global_load_dwordx4 v[184:187], v196, s[12:13] offset:128
	s_waitcnt vmcnt(0) lgkmcnt(1)
	v_mul_f64 v[52:53], v[92:93], v[186:187]
	v_fma_f64 v[150:151], v[36:37], v[184:185], v[52:53]
	v_mul_f64 v[36:37], v[36:37], v[186:187]
	v_fma_f64 v[158:159], v[92:93], v[184:185], -v[36:37]
	v_mul_f64 v[36:37], v[130:131], v[182:183]
	v_fma_f64 v[162:163], v[142:143], v[180:181], v[36:37]
	v_mul_f64 v[36:37], v[142:143], v[182:183]
	v_fma_f64 v[142:143], v[130:131], v[180:181], -v[36:37]
	v_mul_lo_u16_sdwa v36, v255, v178 dst_sel:DWORD dst_unused:UNUSED_PAD src0_sel:BYTE_0 src1_sel:DWORD
	v_sub_u16_sdwa v37, v255, v36 dst_sel:DWORD dst_unused:UNUSED_PAD src0_sel:DWORD src1_sel:BYTE_1
	v_lshrrev_b16_e32 v37, 1, v37
	v_and_b32_e32 v37, 0x7f, v37
	v_add_u16_sdwa v36, v37, v36 dst_sel:DWORD dst_unused:UNUSED_PAD src0_sel:DWORD src1_sel:BYTE_1
	v_lshrrev_b16_e32 v237, 2, v36
	v_mul_lo_u16_e32 v36, 7, v237
	v_sub_u16_e32 v238, v255, v36
	v_mul_u32_u24_sdwa v36, v238, v179 dst_sel:DWORD dst_unused:UNUSED_PAD src0_sel:BYTE_0 src1_sel:DWORD
	v_lshlrev_b32_e32 v200, 4, v36
	global_load_dwordx4 v[180:183], v200, s[12:13] offset:48
	global_load_dwordx4 v[184:187], v200, s[12:13] offset:32
	;; [unrolled: 1-line block ×3, first 2 shown]
	global_load_dwordx4 v[192:195], v200, s[12:13]
	s_waitcnt vmcnt(3)
	v_mul_f64 v[52:53], v[72:73], v[182:183]
	s_waitcnt vmcnt(0)
	v_mul_f64 v[36:37], v[126:127], v[194:195]
	v_fma_f64 v[52:53], v[112:113], v[180:181], -v[52:53]
	v_fma_f64 v[130:131], v[86:87], v[192:193], v[36:37]
	v_mul_f64 v[36:37], v[86:87], v[194:195]
	v_fma_f64 v[126:127], v[126:127], v[192:193], -v[36:37]
	v_mul_f64 v[36:37], v[116:117], v[190:191]
	v_fma_f64 v[86:87], v[76:77], v[188:189], v[36:37]
	v_mul_f64 v[36:37], v[76:77], v[190:191]
	v_fma_f64 v[92:93], v[116:117], v[188:189], -v[36:37]
	v_mul_f64 v[36:37], v[122:123], v[186:187]
	;; [unrolled: 4-line block ×3, first 2 shown]
	v_fma_f64 v[36:37], v[72:73], v[180:181], v[36:37]
	global_load_dwordx4 v[186:189], v200, s[12:13] offset:112
	global_load_dwordx4 v[190:193], v200, s[12:13] offset:96
	;; [unrolled: 1-line block ×4, first 2 shown]
	s_waitcnt vmcnt(0)
	v_mul_f64 v[72:73], v[110:111], v[196:197]
	v_fma_f64 v[72:73], v[58:59], v[194:195], v[72:73]
	v_mul_f64 v[58:59], v[58:59], v[196:197]
	v_fma_f64 v[122:123], v[110:111], v[194:195], -v[58:59]
	v_mul_f64 v[58:59], v[100:101], v[182:183]
	v_fma_f64 v[58:59], v[48:49], v[180:181], v[58:59]
	v_mul_f64 v[48:49], v[48:49], v[182:183]
	v_fma_f64 v[48:49], v[100:101], v[180:181], -v[48:49]
	v_mul_f64 v[100:101], v[106:107], v[192:193]
	v_fma_f64 v[182:183], v[54:55], v[190:191], v[100:101]
	v_mul_f64 v[54:55], v[54:55], v[192:193]
	v_mul_f64 v[100:101], v[96:97], v[188:189]
	v_fma_f64 v[54:55], v[106:107], v[190:191], -v[54:55]
	v_fma_f64 v[184:185], v[44:45], v[186:187], v[100:101]
	v_mul_f64 v[44:45], v[44:45], v[188:189]
	global_load_dwordx4 v[110:113], v200, s[12:13] offset:144
	global_load_dwordx4 v[188:191], v200, s[12:13] offset:128
	v_fma_f64 v[44:45], v[96:97], v[186:187], -v[44:45]
	s_waitcnt vmcnt(0)
	v_mul_f64 v[96:97], v[94:95], v[190:191]
	v_fma_f64 v[186:187], v[38:39], v[188:189], v[96:97]
	v_mul_f64 v[38:39], v[38:39], v[190:191]
	v_fma_f64 v[38:39], v[94:95], v[188:189], -v[38:39]
	s_waitcnt lgkmcnt(0)
	v_mul_f64 v[94:95], v[176:177], v[112:113]
	v_fma_f64 v[190:191], v[230:231], v[110:111], v[94:95]
	v_mul_f64 v[94:95], v[230:231], v[112:113]
	v_fma_f64 v[188:189], v[176:177], v[110:111], -v[94:95]
	v_mul_lo_u16_sdwa v94, v208, v178 dst_sel:DWORD dst_unused:UNUSED_PAD src0_sel:BYTE_0 src1_sel:DWORD
	v_sub_u16_sdwa v95, v208, v94 dst_sel:DWORD dst_unused:UNUSED_PAD src0_sel:DWORD src1_sel:BYTE_1
	v_lshrrev_b16_e32 v95, 1, v95
	v_and_b32_e32 v95, 0x7f, v95
	v_add_u16_sdwa v94, v95, v94 dst_sel:DWORD dst_unused:UNUSED_PAD src0_sel:DWORD src1_sel:BYTE_1
	v_lshrrev_b16_e32 v221, 2, v94
	v_mul_lo_u16_e32 v94, 7, v221
	v_sub_u16_e32 v222, v208, v94
	v_mul_u32_u24_sdwa v94, v222, v179 dst_sel:DWORD dst_unused:UNUSED_PAD src0_sel:BYTE_0 src1_sel:DWORD
	v_lshlrev_b32_e32 v196, 4, v94
	global_load_dwordx4 v[94:97], v196, s[12:13] offset:48
	global_load_dwordx4 v[192:195], v196, s[12:13] offset:32
	;; [unrolled: 1-line block ×3, first 2 shown]
	global_load_dwordx4 v[200:203], v196, s[12:13]
	s_waitcnt vmcnt(0)
	v_mul_f64 v[100:101], v[70:71], v[202:203]
	v_fma_f64 v[178:179], v[30:31], v[200:201], v[100:101]
	v_mul_f64 v[30:31], v[30:31], v[202:203]
	v_fma_f64 v[180:181], v[70:71], v[200:201], -v[30:31]
	v_mul_f64 v[30:31], v[88:89], v[112:113]
	v_fma_f64 v[106:107], v[32:33], v[110:111], v[30:31]
	v_mul_f64 v[30:31], v[32:33], v[112:113]
	v_fma_f64 v[110:111], v[88:89], v[110:111], -v[30:31]
	v_mul_f64 v[30:31], v[90:91], v[194:195]
	v_fma_f64 v[30:31], v[34:35], v[192:193], v[30:31]
	buffer_store_dword v30, off, s[40:43], 0 offset:16 ; 4-byte Folded Spill
	s_nop 0
	buffer_store_dword v31, off, s[40:43], 0 offset:20 ; 4-byte Folded Spill
	v_mul_f64 v[30:31], v[34:35], v[194:195]
	v_fma_f64 v[90:91], v[90:91], v[192:193], -v[30:31]
	v_mul_f64 v[30:31], v[64:65], v[96:97]
	v_fma_f64 v[30:31], v[24:25], v[94:95], v[30:31]
	v_mul_f64 v[24:25], v[24:25], v[96:97]
	buffer_store_dword v30, off, s[40:43], 0 ; 4-byte Folded Spill
	s_nop 0
	buffer_store_dword v31, off, s[40:43], 0 offset:4 ; 4-byte Folded Spill
	v_fma_f64 v[24:25], v[64:65], v[94:95], -v[24:25]
	buffer_store_dword v24, off, s[40:43], 0 offset:8 ; 4-byte Folded Spill
	s_nop 0
	buffer_store_dword v25, off, s[40:43], 0 offset:12 ; 4-byte Folded Spill
	global_load_dwordx4 v[30:33], v196, s[12:13] offset:112
	global_load_dwordx4 v[192:195], v196, s[12:13] offset:96
	;; [unrolled: 1-line block ×4, first 2 shown]
	s_waitcnt vmcnt(0)
	v_mul_f64 v[34:35], v[66:67], v[206:207]
	v_fma_f64 v[94:95], v[26:27], v[204:205], v[34:35]
	v_mul_f64 v[26:27], v[26:27], v[206:207]
	v_fma_f64 v[96:97], v[66:67], v[204:205], -v[26:27]
	v_mul_f64 v[26:27], v[60:61], v[202:203]
	v_add_f64 v[204:205], v[74:75], -v[78:79]
	v_fma_f64 v[26:27], v[20:21], v[200:201], v[26:27]
	v_mul_f64 v[20:21], v[20:21], v[202:203]
	v_fma_f64 v[100:101], v[60:61], v[200:201], -v[20:21]
	v_mul_f64 v[20:21], v[62:63], v[194:195]
	v_fma_f64 v[112:113], v[22:23], v[192:193], v[20:21]
	v_mul_f64 v[20:21], v[22:23], v[194:195]
	v_fma_f64 v[116:117], v[62:63], v[192:193], -v[20:21]
	v_mul_f64 v[20:21], v[40:41], v[32:33]
	v_fma_f64 v[176:177], v[16:17], v[30:31], v[20:21]
	v_mul_f64 v[16:17], v[16:17], v[32:33]
	v_fma_f64 v[16:17], v[40:41], v[30:31], -v[16:17]
	global_load_dwordx4 v[20:23], v196, s[12:13] offset:144
	global_load_dwordx4 v[30:33], v196, s[12:13] offset:128
	s_waitcnt lgkmcnt(0)
	; wave barrier
	s_waitcnt vmcnt(0)
	v_mul_f64 v[34:35], v[42:43], v[32:33]
	v_fma_f64 v[194:195], v[18:19], v[30:31], v[34:35]
	v_mul_f64 v[18:19], v[18:19], v[32:33]
	v_fma_f64 v[192:193], v[42:43], v[30:31], -v[18:19]
	v_mul_f64 v[18:19], v[198:199], v[22:23]
	v_add_f64 v[30:31], v[168:169], -v[102:103]
	v_fma_f64 v[196:197], v[228:229], v[20:21], v[18:19]
	v_mul_f64 v[18:19], v[228:229], v[22:23]
	v_add_f64 v[22:23], v[166:167], v[174:175]
	v_mul_f64 v[32:33], v[30:31], s[4:5]
	v_mul_f64 v[40:41], v[30:31], s[6:7]
	;; [unrolled: 1-line block ×5, first 2 shown]
	v_fma_f64 v[18:19], v[198:199], v[20:21], -v[18:19]
	v_add_f64 v[20:21], v[12:13], v[166:167]
	v_fma_f64 v[34:35], v[22:23], s[8:9], v[32:33]
	v_fma_f64 v[32:33], v[22:23], s[8:9], -v[32:33]
	v_fma_f64 v[42:43], v[22:23], s[14:15], v[40:41]
	v_fma_f64 v[40:41], v[22:23], s[14:15], -v[40:41]
	v_fma_f64 v[62:63], v[22:23], s[18:19], v[60:61]
	v_fma_f64 v[60:61], v[22:23], s[18:19], -v[60:61]
	v_fma_f64 v[66:67], v[22:23], s[22:23], v[64:65]
	v_fma_f64 v[64:65], v[22:23], s[22:23], -v[64:65]
	v_fma_f64 v[198:199], v[22:23], s[26:27], v[30:31]
	v_fma_f64 v[22:23], v[22:23], s[26:27], -v[30:31]
	v_add_f64 v[30:31], v[152:153], -v[132:133]
	v_add_f64 v[34:35], v[12:13], v[34:35]
	v_add_f64 v[32:33], v[12:13], v[32:33]
	;; [unrolled: 1-line block ×11, first 2 shown]
	v_mul_f64 v[200:201], v[30:31], s[6:7]
	v_add_f64 v[20:21], v[20:21], v[164:165]
	v_fma_f64 v[202:203], v[22:23], s[14:15], v[200:201]
	v_fma_f64 v[200:201], v[22:23], s[14:15], -v[200:201]
	v_add_f64 v[20:21], v[20:21], v[154:155]
	v_add_f64 v[34:35], v[202:203], v[34:35]
	v_add_f64 v[32:33], v[200:201], v[32:33]
	v_mul_f64 v[200:201], v[30:31], s[20:21]
	v_add_f64 v[20:21], v[20:21], v[118:119]
	v_fma_f64 v[202:203], v[22:23], s[22:23], v[200:201]
	v_fma_f64 v[200:201], v[22:23], s[22:23], -v[200:201]
	v_add_f64 v[20:21], v[20:21], v[2:3]
	v_add_f64 v[42:43], v[202:203], v[42:43]
	v_add_f64 v[40:41], v[200:201], v[40:41]
	;; [unrolled: 7-line block ×3, first 2 shown]
	v_mul_f64 v[200:201], v[30:31], s[28:29]
	v_mul_f64 v[30:31], v[30:31], s[34:35]
	v_add_f64 v[20:21], v[20:21], v[160:161]
	v_fma_f64 v[202:203], v[22:23], s[18:19], v[200:201]
	v_fma_f64 v[200:201], v[22:23], s[18:19], -v[200:201]
	v_add_f64 v[20:21], v[20:21], v[156:157]
	v_add_f64 v[66:67], v[202:203], v[66:67]
	;; [unrolled: 1-line block ×3, first 2 shown]
	v_fma_f64 v[200:201], v[22:23], s[8:9], v[30:31]
	v_fma_f64 v[22:23], v[22:23], s[8:9], -v[30:31]
	v_add_f64 v[30:31], v[148:149], -v[136:137]
	v_add_f64 v[20:21], v[20:21], v[174:175]
	v_add_f64 v[198:199], v[200:201], v[198:199]
	;; [unrolled: 1-line block ×4, first 2 shown]
	v_mul_f64 v[200:201], v[30:31], s[16:17]
	v_fma_f64 v[202:203], v[22:23], s[18:19], v[200:201]
	v_fma_f64 v[200:201], v[22:23], s[18:19], -v[200:201]
	v_add_f64 v[34:35], v[202:203], v[34:35]
	v_add_f64 v[32:33], v[200:201], v[32:33]
	v_mul_f64 v[200:201], v[30:31], s[30:31]
	v_fma_f64 v[202:203], v[22:23], s[26:27], v[200:201]
	v_fma_f64 v[200:201], v[22:23], s[26:27], -v[200:201]
	v_add_f64 v[42:43], v[202:203], v[42:43]
	v_add_f64 v[40:41], v[200:201], v[40:41]
	;; [unrolled: 5-line block ×3, first 2 shown]
	v_mul_f64 v[200:201], v[30:31], s[4:5]
	v_mul_f64 v[30:31], v[30:31], s[20:21]
	v_fma_f64 v[202:203], v[22:23], s[8:9], v[200:201]
	v_fma_f64 v[200:201], v[22:23], s[8:9], -v[200:201]
	v_add_f64 v[66:67], v[202:203], v[66:67]
	v_add_f64 v[64:65], v[200:201], v[64:65]
	v_fma_f64 v[200:201], v[22:23], s[22:23], v[30:31]
	v_fma_f64 v[22:23], v[22:23], s[22:23], -v[30:31]
	v_add_f64 v[30:31], v[144:145], -v[50:51]
	v_add_f64 v[198:199], v[200:201], v[198:199]
	v_add_f64 v[12:13], v[22:23], v[12:13]
	;; [unrolled: 1-line block ×3, first 2 shown]
	v_mul_f64 v[200:201], v[30:31], s[20:21]
	v_fma_f64 v[202:203], v[22:23], s[22:23], v[200:201]
	v_fma_f64 v[200:201], v[22:23], s[22:23], -v[200:201]
	v_add_f64 v[34:35], v[202:203], v[34:35]
	v_add_f64 v[32:33], v[200:201], v[32:33]
	v_mul_f64 v[200:201], v[30:31], s[28:29]
	v_fma_f64 v[202:203], v[22:23], s[18:19], v[200:201]
	v_fma_f64 v[200:201], v[22:23], s[18:19], -v[200:201]
	v_add_f64 v[42:43], v[202:203], v[42:43]
	v_add_f64 v[40:41], v[200:201], v[40:41]
	;; [unrolled: 5-line block ×3, first 2 shown]
	v_mul_f64 v[200:201], v[30:31], s[24:25]
	v_mul_f64 v[30:31], v[30:31], s[36:37]
	v_fma_f64 v[202:203], v[22:23], s[26:27], v[200:201]
	v_fma_f64 v[200:201], v[22:23], s[26:27], -v[200:201]
	v_add_f64 v[66:67], v[202:203], v[66:67]
	v_add_f64 v[64:65], v[200:201], v[64:65]
	v_fma_f64 v[200:201], v[22:23], s[14:15], v[30:31]
	v_fma_f64 v[22:23], v[22:23], s[14:15], -v[30:31]
	v_add_f64 v[202:203], v[2:3], v[10:11]
	v_mul_f64 v[30:31], v[204:205], s[34:35]
	v_add_f64 v[198:199], v[200:201], v[198:199]
	v_add_f64 v[200:201], v[22:23], v[12:13]
	v_mul_f64 v[12:13], v[204:205], s[24:25]
	v_fma_f64 v[22:23], v[202:203], s[26:27], v[12:13]
	v_fma_f64 v[12:13], v[202:203], s[26:27], -v[12:13]
	v_add_f64 v[22:23], v[22:23], v[34:35]
	v_add_f64 v[12:13], v[12:13], v[32:33]
	v_fma_f64 v[32:33], v[202:203], s[8:9], v[30:31]
	v_fma_f64 v[30:31], v[202:203], s[8:9], -v[30:31]
	v_mul_f64 v[34:35], v[204:205], s[20:21]
	v_add_f64 v[32:33], v[32:33], v[42:43]
	v_add_f64 v[30:31], v[30:31], v[40:41]
	v_fma_f64 v[40:41], v[202:203], s[22:23], v[34:35]
	v_fma_f64 v[34:35], v[202:203], s[22:23], -v[34:35]
	v_add_f64 v[40:41], v[40:41], v[62:63]
	v_add_f64 v[34:35], v[34:35], v[60:61]
	v_mul_f64 v[60:61], v[204:205], s[36:37]
	v_fma_f64 v[42:43], v[202:203], s[14:15], v[60:61]
	v_fma_f64 v[60:61], v[202:203], s[14:15], -v[60:61]
	v_add_f64 v[42:43], v[42:43], v[66:67]
	v_add_f64 v[60:61], v[60:61], v[64:65]
	v_mul_f64 v[64:65], v[204:205], s[16:17]
	v_add_f64 v[66:67], v[14:15], v[170:171]
	v_fma_f64 v[62:63], v[202:203], s[18:19], v[64:65]
	v_fma_f64 v[64:65], v[202:203], s[18:19], -v[64:65]
	v_add_f64 v[66:67], v[66:67], v[128:129]
	v_add_f64 v[62:63], v[62:63], v[198:199]
	;; [unrolled: 1-line block ×3, first 2 shown]
	v_add_f64 v[200:201], v[172:173], -v[142:143]
	v_add_f64 v[198:199], v[170:171], v[162:163]
	v_add_f64 v[66:67], v[66:67], v[124:125]
	v_mul_f64 v[202:203], v[200:201], s[4:5]
	v_mul_f64 v[206:207], v[200:201], s[6:7]
	;; [unrolled: 1-line block ×5, first 2 shown]
	v_add_f64 v[66:67], v[66:67], v[46:47]
	v_fma_f64 v[204:205], v[198:199], s[8:9], v[202:203]
	v_fma_f64 v[202:203], v[198:199], s[8:9], -v[202:203]
	v_fma_f64 v[208:209], v[198:199], s[14:15], v[206:207]
	v_fma_f64 v[206:207], v[198:199], s[14:15], -v[206:207]
	;; [unrolled: 2-line block ×5, first 2 shown]
	v_add_f64 v[200:201], v[140:141], -v[158:159]
	v_add_f64 v[204:205], v[14:15], v[204:205]
	v_add_f64 v[202:203], v[14:15], v[202:203]
	;; [unrolled: 1-line block ×11, first 2 shown]
	v_mul_f64 v[230:231], v[200:201], s[6:7]
	v_add_f64 v[66:67], v[66:67], v[84:85]
	v_fma_f64 v[239:240], v[198:199], s[14:15], v[230:231]
	v_fma_f64 v[230:231], v[198:199], s[14:15], -v[230:231]
	v_add_f64 v[66:67], v[66:67], v[56:57]
	v_add_f64 v[204:205], v[239:240], v[204:205]
	v_add_f64 v[202:203], v[230:231], v[202:203]
	v_mul_f64 v[230:231], v[200:201], s[20:21]
	v_add_f64 v[66:67], v[66:67], v[138:139]
	v_fma_f64 v[239:240], v[198:199], s[22:23], v[230:231]
	v_fma_f64 v[230:231], v[198:199], s[22:23], -v[230:231]
	v_add_f64 v[66:67], v[66:67], v[146:147]
	v_add_f64 v[208:209], v[239:240], v[208:209]
	v_add_f64 v[206:207], v[230:231], v[206:207]
	v_mul_f64 v[230:231], v[200:201], s[30:31]
	v_add_f64 v[66:67], v[66:67], v[150:151]
	v_fma_f64 v[239:240], v[198:199], s[26:27], v[230:231]
	v_fma_f64 v[230:231], v[198:199], s[26:27], -v[230:231]
	v_add_f64 v[66:67], v[66:67], v[162:163]
	v_add_f64 v[212:213], v[239:240], v[212:213]
	v_add_f64 v[210:211], v[230:231], v[210:211]
	v_mul_f64 v[230:231], v[200:201], s[28:29]
	v_mul_f64 v[200:201], v[200:201], s[34:35]
	v_fma_f64 v[239:240], v[198:199], s[18:19], v[230:231]
	v_fma_f64 v[230:231], v[198:199], s[18:19], -v[230:231]
	v_add_f64 v[216:217], v[239:240], v[216:217]
	v_add_f64 v[214:215], v[230:231], v[214:215]
	v_fma_f64 v[230:231], v[198:199], s[8:9], v[200:201]
	v_fma_f64 v[198:199], v[198:199], s[8:9], -v[200:201]
	v_add_f64 v[200:201], v[120:121], -v[134:135]
	v_add_f64 v[228:229], v[230:231], v[228:229]
	v_add_f64 v[14:15], v[198:199], v[14:15]
	;; [unrolled: 1-line block ×3, first 2 shown]
	v_mul_f64 v[230:231], v[200:201], s[16:17]
	v_fma_f64 v[239:240], v[198:199], s[18:19], v[230:231]
	v_fma_f64 v[230:231], v[198:199], s[18:19], -v[230:231]
	v_add_f64 v[204:205], v[239:240], v[204:205]
	v_add_f64 v[202:203], v[230:231], v[202:203]
	v_mul_f64 v[230:231], v[200:201], s[30:31]
	v_fma_f64 v[239:240], v[198:199], s[26:27], v[230:231]
	v_fma_f64 v[230:231], v[198:199], s[26:27], -v[230:231]
	v_add_f64 v[208:209], v[239:240], v[208:209]
	v_add_f64 v[206:207], v[230:231], v[206:207]
	;; [unrolled: 5-line block ×3, first 2 shown]
	v_mul_f64 v[230:231], v[200:201], s[4:5]
	v_mul_f64 v[200:201], v[200:201], s[20:21]
	v_fma_f64 v[239:240], v[198:199], s[8:9], v[230:231]
	v_fma_f64 v[230:231], v[198:199], s[8:9], -v[230:231]
	v_add_f64 v[216:217], v[239:240], v[216:217]
	v_add_f64 v[214:215], v[230:231], v[214:215]
	v_fma_f64 v[230:231], v[198:199], s[22:23], v[200:201]
	v_fma_f64 v[198:199], v[198:199], s[22:23], -v[200:201]
	v_add_f64 v[200:201], v[80:81], -v[104:105]
	v_add_f64 v[228:229], v[230:231], v[228:229]
	v_add_f64 v[14:15], v[198:199], v[14:15]
	;; [unrolled: 1-line block ×3, first 2 shown]
	v_mul_f64 v[230:231], v[200:201], s[20:21]
	v_fma_f64 v[239:240], v[198:199], s[22:23], v[230:231]
	v_fma_f64 v[230:231], v[198:199], s[22:23], -v[230:231]
	v_add_f64 v[204:205], v[239:240], v[204:205]
	v_add_f64 v[202:203], v[230:231], v[202:203]
	v_mul_f64 v[230:231], v[200:201], s[28:29]
	v_fma_f64 v[239:240], v[198:199], s[18:19], v[230:231]
	v_fma_f64 v[230:231], v[198:199], s[18:19], -v[230:231]
	v_add_f64 v[208:209], v[239:240], v[208:209]
	v_add_f64 v[206:207], v[230:231], v[206:207]
	;; [unrolled: 5-line block ×3, first 2 shown]
	v_mul_f64 v[230:231], v[200:201], s[24:25]
	v_mul_f64 v[200:201], v[200:201], s[36:37]
	v_fma_f64 v[239:240], v[198:199], s[26:27], v[230:231]
	v_fma_f64 v[230:231], v[198:199], s[26:27], -v[230:231]
	v_add_f64 v[216:217], v[239:240], v[216:217]
	v_add_f64 v[214:215], v[230:231], v[214:215]
	v_fma_f64 v[230:231], v[198:199], s[14:15], v[200:201]
	v_fma_f64 v[198:199], v[198:199], s[14:15], -v[200:201]
	v_add_f64 v[239:240], v[84:85], v[56:57]
	v_mul_f64 v[200:201], v[241:242], s[34:35]
	v_add_f64 v[228:229], v[230:231], v[228:229]
	v_add_f64 v[230:231], v[198:199], v[14:15]
	v_mul_f64 v[14:15], v[241:242], s[24:25]
	v_fma_f64 v[198:199], v[239:240], s[26:27], v[14:15]
	v_fma_f64 v[14:15], v[239:240], s[26:27], -v[14:15]
	v_add_f64 v[198:199], v[198:199], v[204:205]
	v_add_f64 v[14:15], v[14:15], v[202:203]
	v_fma_f64 v[202:203], v[239:240], s[8:9], v[200:201]
	v_fma_f64 v[200:201], v[239:240], s[8:9], -v[200:201]
	v_mul_f64 v[204:205], v[241:242], s[20:21]
	v_add_f64 v[202:203], v[202:203], v[208:209]
	v_add_f64 v[200:201], v[200:201], v[206:207]
	v_fma_f64 v[206:207], v[239:240], s[22:23], v[204:205]
	v_fma_f64 v[204:205], v[239:240], s[22:23], -v[204:205]
	v_add_f64 v[206:207], v[206:207], v[212:213]
	v_add_f64 v[204:205], v[204:205], v[210:211]
	v_mul_f64 v[210:211], v[241:242], s[36:37]
	v_fma_f64 v[208:209], v[239:240], s[14:15], v[210:211]
	v_fma_f64 v[210:211], v[239:240], s[14:15], -v[210:211]
	v_add_f64 v[208:209], v[208:209], v[216:217]
	v_add_f64 v[210:211], v[210:211], v[214:215]
	v_mul_f64 v[214:215], v[241:242], s[16:17]
	v_add_f64 v[216:217], v[8:9], v[130:131]
	v_fma_f64 v[212:213], v[239:240], s[18:19], v[214:215]
	v_fma_f64 v[214:215], v[239:240], s[18:19], -v[214:215]
	v_add_f64 v[216:217], v[216:217], v[86:87]
	v_add_f64 v[212:213], v[212:213], v[228:229]
	;; [unrolled: 1-line block ×3, first 2 shown]
	v_add_f64 v[230:231], v[126:127], -v[188:189]
	v_add_f64 v[228:229], v[130:131], v[190:191]
	v_add_f64 v[216:217], v[216:217], v[76:77]
	v_mul_f64 v[239:240], v[230:231], s[4:5]
	v_mul_f64 v[243:244], v[230:231], s[6:7]
	;; [unrolled: 1-line block ×5, first 2 shown]
	v_add_f64 v[216:217], v[216:217], v[36:37]
	v_fma_f64 v[241:242], v[228:229], s[8:9], v[239:240]
	v_fma_f64 v[239:240], v[228:229], s[8:9], -v[239:240]
	v_fma_f64 v[245:246], v[228:229], s[14:15], v[243:244]
	v_fma_f64 v[243:244], v[228:229], s[14:15], -v[243:244]
	;; [unrolled: 2-line block ×5, first 2 shown]
	v_add_f64 v[230:231], v[92:93], -v[38:39]
	v_add_f64 v[241:242], v[8:9], v[241:242]
	v_add_f64 v[239:240], v[8:9], v[239:240]
	;; [unrolled: 1-line block ×11, first 2 shown]
	v_mul_f64 v[24:25], v[230:231], s[6:7]
	v_add_f64 v[216:217], v[216:217], v[72:73]
	v_fma_f64 v[88:89], v[228:229], s[14:15], v[24:25]
	v_fma_f64 v[24:25], v[228:229], s[14:15], -v[24:25]
	v_add_f64 v[216:217], v[216:217], v[58:59]
	v_add_f64 v[88:89], v[88:89], v[241:242]
	v_add_f64 v[24:25], v[24:25], v[239:240]
	v_mul_f64 v[239:240], v[230:231], s[20:21]
	v_add_f64 v[216:217], v[216:217], v[182:183]
	v_fma_f64 v[241:242], v[228:229], s[22:23], v[239:240]
	v_fma_f64 v[239:240], v[228:229], s[22:23], -v[239:240]
	v_add_f64 v[216:217], v[216:217], v[184:185]
	v_add_f64 v[241:242], v[241:242], v[245:246]
	v_add_f64 v[239:240], v[239:240], v[243:244]
	;; [unrolled: 7-line block ×3, first 2 shown]
	v_mul_f64 v[247:248], v[230:231], s[28:29]
	v_mul_f64 v[230:231], v[230:231], s[34:35]
	v_fma_f64 v[249:250], v[228:229], s[18:19], v[247:248]
	v_fma_f64 v[247:248], v[228:229], s[18:19], -v[247:248]
	v_add_f64 v[249:250], v[249:250], v[253:254]
	v_add_f64 v[247:248], v[247:248], v[251:252]
	v_fma_f64 v[251:252], v[228:229], s[8:9], v[230:231]
	v_fma_f64 v[228:229], v[228:229], s[8:9], -v[230:231]
	v_add_f64 v[230:231], v[82:83], -v[44:45]
	v_add_f64 v[70:71], v[251:252], v[70:71]
	v_add_f64 v[8:9], v[228:229], v[8:9]
	v_add_f64 v[228:229], v[76:77], v[184:185]
	v_mul_f64 v[251:252], v[230:231], s[16:17]
	v_fma_f64 v[253:254], v[228:229], s[18:19], v[251:252]
	v_fma_f64 v[251:252], v[228:229], s[18:19], -v[251:252]
	v_add_f64 v[88:89], v[253:254], v[88:89]
	v_add_f64 v[24:25], v[251:252], v[24:25]
	v_mul_f64 v[251:252], v[230:231], s[30:31]
	v_fma_f64 v[253:254], v[228:229], s[26:27], v[251:252]
	v_fma_f64 v[251:252], v[228:229], s[26:27], -v[251:252]
	v_add_f64 v[241:242], v[253:254], v[241:242]
	v_add_f64 v[239:240], v[251:252], v[239:240]
	v_mul_f64 v[251:252], v[230:231], s[36:37]
	v_fma_f64 v[253:254], v[228:229], s[14:15], v[251:252]
	v_fma_f64 v[251:252], v[228:229], s[14:15], -v[251:252]
	v_add_f64 v[245:246], v[253:254], v[245:246]
	v_add_f64 v[243:244], v[251:252], v[243:244]
	v_mul_f64 v[251:252], v[230:231], s[4:5]
	v_mul_f64 v[230:231], v[230:231], s[20:21]
	v_fma_f64 v[253:254], v[228:229], s[8:9], v[251:252]
	v_fma_f64 v[251:252], v[228:229], s[8:9], -v[251:252]
	v_add_f64 v[249:250], v[253:254], v[249:250]
	v_add_f64 v[247:248], v[251:252], v[247:248]
	v_fma_f64 v[251:252], v[228:229], s[22:23], v[230:231]
	v_fma_f64 v[228:229], v[228:229], s[22:23], -v[230:231]
	v_add_f64 v[230:231], v[52:53], -v[54:55]
	v_add_f64 v[70:71], v[251:252], v[70:71]
	v_add_f64 v[8:9], v[228:229], v[8:9]
	v_add_f64 v[228:229], v[36:37], v[182:183]
	v_mul_f64 v[251:252], v[230:231], s[20:21]
	v_fma_f64 v[253:254], v[228:229], s[22:23], v[251:252]
	v_fma_f64 v[251:252], v[228:229], s[22:23], -v[251:252]
	v_add_f64 v[88:89], v[253:254], v[88:89]
	v_add_f64 v[24:25], v[251:252], v[24:25]
	v_mul_f64 v[251:252], v[230:231], s[28:29]
	v_fma_f64 v[253:254], v[228:229], s[18:19], v[251:252]
	v_fma_f64 v[251:252], v[228:229], s[18:19], -v[251:252]
	v_add_f64 v[241:242], v[253:254], v[241:242]
	v_add_f64 v[239:240], v[251:252], v[239:240]
	v_mul_f64 v[251:252], v[230:231], s[4:5]
	v_fma_f64 v[253:254], v[228:229], s[8:9], v[251:252]
	v_fma_f64 v[251:252], v[228:229], s[8:9], -v[251:252]
	v_add_f64 v[245:246], v[253:254], v[245:246]
	v_add_f64 v[243:244], v[251:252], v[243:244]
	;; [unrolled: 27-line block ×3, first 2 shown]
	v_mul_f64 v[251:252], v[230:231], s[36:37]
	v_mul_f64 v[230:231], v[230:231], s[16:17]
	v_fma_f64 v[253:254], v[228:229], s[14:15], v[251:252]
	v_fma_f64 v[251:252], v[228:229], s[14:15], -v[251:252]
	v_add_f64 v[249:250], v[253:254], v[249:250]
	v_add_f64 v[247:248], v[251:252], v[247:248]
	v_fma_f64 v[251:252], v[228:229], s[18:19], v[230:231]
	v_fma_f64 v[228:229], v[228:229], s[18:19], -v[230:231]
	v_add_f64 v[70:71], v[251:252], v[70:71]
	v_add_f64 v[229:230], v[228:229], v[8:9]
	v_mov_b32_e32 v8, 3
	v_mul_u32_u24_e32 v9, 0x268, v223
	v_lshlrev_b32_sdwa v218, v8, v234 dst_sel:DWORD dst_unused:UNUSED_PAD src0_sel:DWORD src1_sel:BYTE_0
	v_add3_u32 v223, 0, v9, v218
	ds_write2_b64 v223, v[20:21], v[22:23] offset1:7
	ds_write2_b64 v223, v[32:33], v[40:41] offset0:14 offset1:21
	ds_write2_b64 v223, v[42:43], v[62:63] offset0:28 offset1:35
	;; [unrolled: 1-line block ×4, first 2 shown]
	ds_write_b64 v223, v[12:13] offset:560
	v_mul_u32_u24_e32 v9, 0x268, v235
	v_lshlrev_b32_sdwa v12, v8, v236 dst_sel:DWORD dst_unused:UNUSED_PAD src0_sel:DWORD src1_sel:BYTE_0
	v_add3_u32 v228, 0, v9, v12
	v_mul_u32_u24_e32 v9, 0x268, v237
	v_lshlrev_b32_sdwa v12, v8, v238 dst_sel:DWORD dst_unused:UNUSED_PAD src0_sel:DWORD src1_sel:BYTE_0
	ds_write2_b64 v228, v[66:67], v[198:199] offset1:7
	ds_write2_b64 v228, v[202:203], v[206:207] offset0:14 offset1:21
	ds_write2_b64 v228, v[208:209], v[212:213] offset0:28 offset1:35
	;; [unrolled: 1-line block ×4, first 2 shown]
	ds_write_b64 v228, v[14:15] offset:560
	v_add3_u32 v198, 0, v9, v12
	ds_write2_b64 v198, v[216:217], v[88:89] offset1:7
	ds_write2_b64 v198, v[241:242], v[245:246] offset0:14 offset1:21
	ds_write2_b64 v198, v[249:250], v[70:71] offset0:28 offset1:35
	;; [unrolled: 1-line block ×4, first 2 shown]
	ds_write_b64 v198, v[24:25] offset:560
	s_and_saveexec_b64 s[38:39], s[0:1]
	s_cbranch_execz .LBB0_19
; %bb.18:
	buffer_load_dword v217, off, s[40:43], 0 ; 4-byte Folded Reload
	buffer_load_dword v218, off, s[40:43], 0 offset:4 ; 4-byte Folded Reload
	buffer_load_dword v24, off, s[40:43], 0 offset:8 ; 4-byte Folded Reload
	;; [unrolled: 1-line block ×5, first 2 shown]
	v_add_f64 v[12:13], v[180:181], -v[18:19]
	v_add_f64 v[32:33], v[110:111], -v[192:193]
	v_add_f64 v[34:35], v[178:179], v[196:197]
	v_add_f64 v[30:31], v[90:91], -v[16:17]
	v_add_f64 v[60:61], v[106:107], v[194:195]
	;; [unrolled: 2-line block ×3, first 2 shown]
	v_mul_u32_u24_e32 v9, 0x268, v221
	v_mul_f64 v[40:41], v[12:13], s[24:25]
	v_mul_f64 v[62:63], v[12:13], s[20:21]
	;; [unrolled: 1-line block ×8, first 2 shown]
	v_fma_f64 v[199:200], v[34:35], s[26:27], -v[40:41]
	v_fma_f64 v[40:41], v[34:35], s[26:27], v[40:41]
	v_fma_f64 v[203:204], v[34:35], s[22:23], -v[62:63]
	v_fma_f64 v[209:210], v[60:61], s[8:9], -v[70:71]
	v_fma_f64 v[70:71], v[60:61], s[8:9], v[70:71]
	v_fma_f64 v[211:212], v[60:61], s[18:19], -v[201:202]
	v_fma_f64 v[62:63], v[34:35], s[22:23], v[62:63]
	v_mul_f64 v[215:216], v[30:31], s[36:37]
	v_add_f64 v[199:200], v[28:29], v[199:200]
	v_add_f64 v[40:41], v[28:29], v[40:41]
	;; [unrolled: 1-line block ×3, first 2 shown]
	v_lshlrev_b32_sdwa v8, v8, v222 dst_sel:DWORD dst_unused:UNUSED_PAD src0_sel:DWORD src1_sel:BYTE_0
	v_add3_u32 v8, 0, v9, v8
	v_add_f64 v[62:63], v[28:29], v[62:63]
	v_add_f64 v[199:200], v[209:210], v[199:200]
	;; [unrolled: 1-line block ×4, first 2 shown]
	v_mul_f64 v[211:212], v[12:13], s[16:17]
	v_mul_f64 v[209:210], v[32:33], s[30:31]
	s_waitcnt vmcnt(4)
	v_add_f64 v[22:23], v[217:218], v[112:113]
	s_waitcnt vmcnt(2)
	v_add_f64 v[24:25], v[24:25], -v[116:117]
	s_waitcnt vmcnt(0)
	v_add_f64 v[42:43], v[236:237], v[176:177]
	v_mul_f64 v[66:67], v[24:25], s[36:37]
	v_fma_f64 v[229:230], v[42:43], s[22:23], -v[88:89]
	v_fma_f64 v[88:89], v[42:43], s[22:23], v[88:89]
	v_mul_f64 v[213:214], v[24:25], s[24:25]
	v_fma_f64 v[70:71], v[42:43], s[8:9], -v[207:208]
	v_fma_f64 v[234:235], v[22:23], s[14:15], -v[66:67]
	v_fma_f64 v[66:67], v[22:23], s[14:15], v[66:67]
	v_add_f64 v[40:41], v[88:89], v[40:41]
	v_add_f64 v[199:200], v[229:230], v[199:200]
	v_fma_f64 v[88:89], v[22:23], s[26:27], -v[213:214]
	v_add_f64 v[70:71], v[70:71], v[203:204]
	v_fma_f64 v[203:204], v[14:15], s[18:19], -v[64:65]
	v_fma_f64 v[64:65], v[14:15], s[18:19], v[64:65]
	v_fma_f64 v[229:230], v[34:35], s[18:19], -v[211:212]
	v_add_f64 v[40:41], v[66:67], v[40:41]
	v_add_f64 v[199:200], v[234:235], v[199:200]
	v_fma_f64 v[66:67], v[14:15], s[14:15], -v[205:206]
	v_add_f64 v[70:71], v[88:89], v[70:71]
	v_fma_f64 v[88:89], v[60:61], s[18:19], v[201:202]
	v_fma_f64 v[201:202], v[60:61], s[26:27], -v[209:210]
	v_add_f64 v[229:230], v[28:29], v[229:230]
	v_mul_f64 v[234:235], v[30:31], s[30:31]
	v_add_f64 v[40:41], v[64:65], v[40:41]
	v_fma_f64 v[64:65], v[34:35], s[18:19], v[211:212]
	v_add_f64 v[199:200], v[203:204], v[199:200]
	v_add_f64 v[66:67], v[66:67], v[70:71]
	v_fma_f64 v[70:71], v[42:43], s[8:9], v[207:208]
	v_add_f64 v[62:63], v[88:89], v[62:63]
	v_fma_f64 v[203:204], v[42:43], s[14:15], -v[215:216]
	v_add_f64 v[201:202], v[201:202], v[229:230]
	v_fma_f64 v[207:208], v[60:61], s[26:27], v[209:210]
	v_add_f64 v[64:65], v[28:29], v[64:65]
	v_add_f64 v[211:212], v[28:29], v[178:179]
	v_mul_f64 v[88:89], v[24:25], s[4:5]
	v_fma_f64 v[209:210], v[22:23], s[26:27], v[213:214]
	v_add_f64 v[62:63], v[70:71], v[62:63]
	v_mul_f64 v[30:31], v[30:31], s[16:17]
	v_add_f64 v[201:202], v[203:204], v[201:202]
	v_fma_f64 v[203:204], v[42:43], s[14:15], v[215:216]
	v_add_f64 v[64:65], v[207:208], v[64:65]
	v_add_f64 v[207:208], v[211:212], v[106:107]
	v_fma_f64 v[213:214], v[22:23], s[8:9], -v[88:89]
	v_fma_f64 v[88:89], v[22:23], s[8:9], v[88:89]
	v_add_f64 v[62:63], v[209:210], v[62:63]
	v_mul_f64 v[209:210], v[12:13], s[6:7]
	v_mul_f64 v[12:13], v[12:13], s[4:5]
	;; [unrolled: 1-line block ×3, first 2 shown]
	v_add_f64 v[64:65], v[203:204], v[64:65]
	v_add_f64 v[203:204], v[207:208], v[236:237]
	;; [unrolled: 1-line block ×3, first 2 shown]
	v_mul_f64 v[207:208], v[32:33], s[20:21]
	v_mul_f64 v[32:33], v[32:33], s[6:7]
	v_fma_f64 v[213:214], v[34:35], s[14:15], -v[209:210]
	v_fma_f64 v[242:243], v[34:35], s[8:9], v[12:13]
	v_fma_f64 v[209:210], v[34:35], s[14:15], v[209:210]
	v_add_f64 v[64:65], v[88:89], v[64:65]
	v_add_f64 v[88:89], v[203:204], v[217:218]
	v_fma_f64 v[12:13], v[34:35], s[8:9], -v[12:13]
	v_fma_f64 v[203:204], v[60:61], s[22:23], -v[207:208]
	v_fma_f64 v[34:35], v[60:61], s[14:15], v[32:33]
	v_add_f64 v[213:214], v[28:29], v[213:214]
	v_fma_f64 v[207:208], v[60:61], s[22:23], v[207:208]
	v_add_f64 v[209:210], v[28:29], v[209:210]
	v_fma_f64 v[32:33], v[60:61], s[14:15], -v[32:33]
	v_add_f64 v[88:89], v[88:89], v[94:95]
	v_add_f64 v[12:13], v[28:29], v[12:13]
	v_mul_f64 v[24:25], v[24:25], s[20:21]
	v_fma_f64 v[240:241], v[42:43], s[26:27], -v[234:235]
	v_add_f64 v[203:204], v[203:204], v[213:214]
	v_add_f64 v[213:214], v[28:29], v[242:243]
	v_fma_f64 v[28:29], v[42:43], s[18:19], v[30:31]
	v_fma_f64 v[234:235], v[42:43], s[26:27], v[234:235]
	v_add_f64 v[88:89], v[88:89], v[26:27]
	v_fma_f64 v[30:31], v[42:43], s[18:19], -v[30:31]
	v_add_f64 v[12:13], v[32:33], v[12:13]
	v_mul_f64 v[70:71], v[20:21], s[20:21]
	v_mul_f64 v[215:216], v[20:21], s[34:35]
	v_add_f64 v[34:35], v[34:35], v[213:214]
	v_mul_f64 v[20:21], v[20:21], s[24:25]
	v_fma_f64 v[32:33], v[22:23], s[22:23], v[24:25]
	v_add_f64 v[60:61], v[88:89], v[112:113]
	v_add_f64 v[88:89], v[207:208], v[209:210]
	v_fma_f64 v[207:208], v[22:23], s[18:19], v[229:230]
	v_fma_f64 v[238:239], v[22:23], s[18:19], -v[229:230]
	v_fma_f64 v[22:23], v[22:23], s[22:23], -v[24:25]
	v_add_f64 v[28:29], v[28:29], v[34:35]
	v_add_f64 v[12:13], v[30:31], v[12:13]
	v_fma_f64 v[30:31], v[14:15], s[26:27], v[20:21]
	v_add_f64 v[34:35], v[60:61], v[176:177]
	v_add_f64 v[42:43], v[234:235], v[88:89]
	;; [unrolled: 1-line block ×3, first 2 shown]
	v_fma_f64 v[211:212], v[14:15], s[22:23], -v[70:71]
	v_fma_f64 v[70:71], v[14:15], s[22:23], v[70:71]
	v_add_f64 v[28:29], v[32:33], v[28:29]
	v_fma_f64 v[24:25], v[14:15], s[8:9], v[215:216]
	v_fma_f64 v[205:206], v[14:15], s[14:15], v[205:206]
	v_add_f64 v[32:33], v[34:35], v[194:195]
	v_add_f64 v[34:35], v[207:208], v[42:43]
	v_fma_f64 v[236:237], v[14:15], s[8:9], -v[215:216]
	v_add_f64 v[42:43], v[238:239], v[60:61]
	v_fma_f64 v[14:15], v[14:15], s[26:27], -v[20:21]
	v_add_f64 v[12:13], v[22:23], v[12:13]
	v_add_f64 v[28:29], v[30:31], v[28:29]
	;; [unrolled: 1-line block ×9, first 2 shown]
	ds_write2_b64 v8, v[30:31], v[28:29] offset1:7
	ds_write2_b64 v8, v[24:25], v[22:23] offset0:14 offset1:21
	ds_write2_b64 v8, v[20:21], v[40:41] offset0:28 offset1:35
	;; [unrolled: 1-line block ×4, first 2 shown]
	ds_write_b64 v8, v[12:13] offset:560
.LBB0_19:
	s_or_b64 exec, exec, s[38:39]
	v_add_f64 v[8:9], v[4:5], v[168:169]
	v_add_f64 v[12:13], v[168:169], v[102:103]
	v_add_f64 v[14:15], v[166:167], -v[174:175]
	v_add_f64 v[20:21], v[152:153], v[132:133]
	v_add_f64 v[22:23], v[164:165], -v[156:157]
	v_add_f64 v[24:25], v[148:149], v[136:137]
	s_mov_b32 s39, 0x3fe82f19
	s_mov_b32 s38, s20
	v_add_f64 v[8:9], v[8:9], v[152:153]
	v_mul_f64 v[30:31], v[12:13], s[8:9]
	v_mul_f64 v[32:33], v[12:13], s[14:15]
	v_mul_f64 v[34:35], v[12:13], s[18:19]
	v_mul_f64 v[40:41], v[12:13], s[22:23]
	v_mul_f64 v[12:13], v[12:13], s[26:27]
	v_mul_f64 v[42:43], v[20:21], s[14:15]
	v_add_f64 v[28:29], v[154:155], -v[160:161]
	v_add_f64 v[8:9], v[8:9], v[148:149]
	v_fma_f64 v[148:149], v[14:15], s[34:35], v[30:31]
	v_mul_f64 v[60:61], v[20:21], s[22:23]
	v_mul_f64 v[62:63], v[20:21], s[26:27]
	;; [unrolled: 1-line block ×5, first 2 shown]
	v_fma_f64 v[30:31], v[14:15], s[4:5], v[30:31]
	v_add_f64 v[8:9], v[8:9], v[144:145]
	v_fma_f64 v[152:153], v[14:15], s[36:37], v[32:33]
	v_fma_f64 v[32:33], v[14:15], s[6:7], v[32:33]
	;; [unrolled: 1-line block ×7, first 2 shown]
	v_add_f64 v[8:9], v[8:9], v[74:75]
	v_fma_f64 v[12:13], v[14:15], s[24:25], v[12:13]
	v_fma_f64 v[14:15], v[22:23], s[36:37], v[42:43]
	v_add_f64 v[148:149], v[4:5], v[148:149]
	v_mul_f64 v[70:71], v[24:25], s[26:27]
	v_mul_f64 v[88:89], v[24:25], s[14:15]
	v_fma_f64 v[42:43], v[22:23], s[6:7], v[42:43]
	v_fma_f64 v[164:165], v[22:23], s[38:39], v[60:61]
	v_add_f64 v[8:9], v[8:9], v[78:79]
	v_fma_f64 v[60:61], v[22:23], s[20:21], v[60:61]
	v_fma_f64 v[166:167], v[22:23], s[24:25], v[62:63]
	;; [unrolled: 1-line block ×7, first 2 shown]
	v_add_f64 v[8:9], v[8:9], v[50:51]
	v_fma_f64 v[22:23], v[28:29], s[28:29], v[66:67]
	v_add_f64 v[30:31], v[4:5], v[30:31]
	v_add_f64 v[152:153], v[4:5], v[152:153]
	v_add_f64 v[32:33], v[4:5], v[32:33]
	v_add_f64 v[154:155], v[4:5], v[154:155]
	v_add_f64 v[34:35], v[4:5], v[34:35]
	v_add_f64 v[40:41], v[4:5], v[40:41]
	v_add_f64 v[8:9], v[8:9], v[136:137]
	v_add_f64 v[136:137], v[4:5], v[156:157]
	v_add_f64 v[156:157], v[4:5], v[160:161]
	v_add_f64 v[4:5], v[4:5], v[12:13]
	v_add_f64 v[12:13], v[14:15], v[148:149]
	v_fma_f64 v[66:67], v[28:29], s[16:17], v[66:67]
	v_add_f64 v[14:15], v[42:43], v[30:31]
	v_add_f64 v[32:33], v[60:61], v[32:33]
	;; [unrolled: 1-line block ×7, first 2 shown]
	v_fma_f64 v[20:21], v[28:29], s[30:31], v[70:71]
	v_add_f64 v[50:51], v[144:145], v[50:51]
	v_fma_f64 v[64:65], v[28:29], s[36:37], v[88:89]
	v_add_f64 v[102:103], v[8:9], v[102:103]
	v_add_f64 v[8:9], v[22:23], v[12:13]
	v_mul_f64 v[12:13], v[24:25], s[8:9]
	v_fma_f64 v[22:23], v[28:29], s[6:7], v[88:89]
	v_mul_f64 v[24:25], v[24:25], s[22:23]
	v_fma_f64 v[199:200], v[28:29], s[24:25], v[70:71]
	v_add_f64 v[62:63], v[174:175], v[156:157]
	v_add_f64 v[14:15], v[66:67], v[14:15]
	;; [unrolled: 1-line block ×3, first 2 shown]
	v_add_f64 v[32:33], v[118:119], -v[114:115]
	v_fma_f64 v[66:67], v[28:29], s[34:35], v[12:13]
	v_add_f64 v[22:23], v[22:23], v[42:43]
	v_fma_f64 v[12:13], v[28:29], s[4:5], v[12:13]
	v_mul_f64 v[42:43], v[50:51], s[22:23]
	v_fma_f64 v[70:71], v[28:29], s[38:39], v[24:25]
	v_add_f64 v[34:35], v[64:65], v[34:35]
	v_add_f64 v[64:65], v[6:7], v[172:173]
	v_add_f64 v[60:61], v[168:169], v[136:137]
	v_fma_f64 v[24:25], v[28:29], s[20:21], v[24:25]
	v_add_f64 v[2:3], v[2:3], -v[10:11]
	v_add_f64 v[12:13], v[12:13], v[40:41]
	v_fma_f64 v[28:29], v[32:33], s[38:39], v[42:43]
	v_add_f64 v[40:41], v[70:71], v[62:63]
	v_fma_f64 v[42:43], v[32:33], s[20:21], v[42:43]
	v_mul_f64 v[62:63], v[50:51], s[8:9]
	v_add_f64 v[64:65], v[64:65], v[140:141]
	v_add_f64 v[60:61], v[66:67], v[60:61]
	v_mul_f64 v[66:67], v[50:51], s[18:19]
	v_add_f64 v[4:5], v[24:25], v[4:5]
	v_add_f64 v[8:9], v[28:29], v[8:9]
	v_mul_f64 v[24:25], v[50:51], s[26:27]
	v_add_f64 v[14:15], v[42:43], v[14:15]
	v_fma_f64 v[28:29], v[32:33], s[34:35], v[62:63]
	v_add_f64 v[42:43], v[64:65], v[120:121]
	v_add_f64 v[64:65], v[74:75], v[78:79]
	v_fma_f64 v[70:71], v[32:33], s[16:17], v[66:67]
	v_fma_f64 v[66:67], v[32:33], s[28:29], v[66:67]
	v_mul_f64 v[50:51], v[50:51], s[14:15]
	v_fma_f64 v[62:63], v[32:33], s[4:5], v[62:63]
	v_add_f64 v[30:31], v[164:165], v[152:153]
	v_add_f64 v[22:23], v[28:29], v[22:23]
	;; [unrolled: 1-line block ×3, first 2 shown]
	v_mul_f64 v[10:11], v[64:65], s[26:27]
	v_add_f64 v[36:37], v[36:37], -v[182:183]
	v_add_f64 v[20:21], v[66:67], v[20:21]
	v_fma_f64 v[66:67], v[32:33], s[30:31], v[24:25]
	v_fma_f64 v[24:25], v[32:33], s[24:25], v[24:25]
	v_add_f64 v[34:35], v[62:63], v[34:35]
	v_mul_f64 v[62:63], v[64:65], s[8:9]
	v_add_f64 v[28:29], v[28:29], v[98:99]
	v_add_f64 v[30:31], v[199:200], v[30:31]
	s_waitcnt lgkmcnt(0)
	; wave barrier
	s_waitcnt lgkmcnt(0)
	v_add_f64 v[42:43], v[66:67], v[60:61]
	v_fma_f64 v[60:61], v[32:33], s[6:7], v[50:51]
	v_add_f64 v[12:13], v[24:25], v[12:13]
	v_fma_f64 v[24:25], v[32:33], s[36:37], v[50:51]
	v_fma_f64 v[32:33], v[2:3], s[30:31], v[10:11]
	;; [unrolled: 1-line block ×3, first 2 shown]
	v_add_f64 v[28:29], v[28:29], v[108:109]
	v_mul_f64 v[50:51], v[64:65], s[22:23]
	v_add_f64 v[30:31], v[70:71], v[30:31]
	v_add_f64 v[40:41], v[60:61], v[40:41]
	v_fma_f64 v[60:61], v[2:3], s[4:5], v[62:63]
	v_fma_f64 v[62:63], v[2:3], s[34:35], v[62:63]
	v_add_f64 v[4:5], v[24:25], v[4:5]
	v_add_f64 v[114:115], v[10:11], v[14:15]
	;; [unrolled: 1-line block ×4, first 2 shown]
	v_fma_f64 v[8:9], v[2:3], s[38:39], v[50:51]
	v_mul_f64 v[10:11], v[64:65], s[14:15]
	v_mul_f64 v[24:25], v[64:65], s[18:19]
	v_add_f64 v[132:133], v[62:63], v[20:21]
	v_add_f64 v[20:21], v[172:173], v[142:143]
	;; [unrolled: 1-line block ×4, first 2 shown]
	v_fma_f64 v[28:29], v[2:3], s[20:21], v[50:51]
	v_add_f64 v[144:145], v[8:9], v[22:23]
	v_fma_f64 v[8:9], v[2:3], s[6:7], v[10:11]
	v_fma_f64 v[10:11], v[2:3], s[36:37], v[10:11]
	v_add_f64 v[22:23], v[170:171], -v[162:163]
	v_mul_f64 v[30:31], v[20:21], s[8:9]
	v_fma_f64 v[32:33], v[2:3], s[28:29], v[24:25]
	v_add_f64 v[14:15], v[14:15], v[158:159]
	v_fma_f64 v[2:3], v[2:3], s[16:17], v[24:25]
	v_add_f64 v[24:25], v[140:141], v[158:159]
	v_add_f64 v[148:149], v[28:29], v[34:35]
	;; [unrolled: 1-line block ×3, first 2 shown]
	v_mul_f64 v[8:9], v[20:21], s[14:15]
	v_add_f64 v[154:155], v[10:11], v[12:13]
	v_fma_f64 v[10:11], v[22:23], s[34:35], v[30:31]
	v_add_f64 v[142:143], v[14:15], v[142:143]
	v_mul_f64 v[14:15], v[20:21], s[22:23]
	v_add_f64 v[156:157], v[32:33], v[40:41]
	v_fma_f64 v[12:13], v[22:23], s[4:5], v[30:31]
	v_add_f64 v[160:161], v[2:3], v[4:5]
	v_mul_f64 v[2:3], v[20:21], s[18:19]
	v_mul_f64 v[20:21], v[20:21], s[26:27]
	v_add_f64 v[32:33], v[128:129], -v[150:151]
	v_mul_f64 v[34:35], v[24:25], s[14:15]
	v_fma_f64 v[30:31], v[22:23], s[38:39], v[14:15]
	v_fma_f64 v[4:5], v[22:23], s[36:37], v[8:9]
	;; [unrolled: 1-line block ×3, first 2 shown]
	v_add_f64 v[10:11], v[6:7], v[10:11]
	v_add_f64 v[12:13], v[6:7], v[12:13]
	v_fma_f64 v[28:29], v[22:23], s[28:29], v[2:3]
	v_fma_f64 v[2:3], v[22:23], s[16:17], v[2:3]
	;; [unrolled: 1-line block ×4, first 2 shown]
	v_mul_f64 v[42:43], v[24:25], s[22:23]
	v_fma_f64 v[20:21], v[22:23], s[24:25], v[20:21]
	v_add_f64 v[22:23], v[6:7], v[30:31]
	v_fma_f64 v[30:31], v[32:33], s[36:37], v[34:35]
	v_fma_f64 v[34:35], v[32:33], s[6:7], v[34:35]
	v_add_f64 v[4:5], v[6:7], v[4:5]
	v_add_f64 v[8:9], v[6:7], v[8:9]
	;; [unrolled: 1-line block ×6, first 2 shown]
	v_fma_f64 v[50:51], v[32:33], s[38:39], v[42:43]
	v_mul_f64 v[60:61], v[24:25], s[26:27]
	v_add_f64 v[6:7], v[6:7], v[20:21]
	v_fma_f64 v[20:21], v[32:33], s[20:21], v[42:43]
	v_add_f64 v[10:11], v[30:31], v[10:11]
	v_add_f64 v[12:13], v[34:35], v[12:13]
	;; [unrolled: 1-line block ×3, first 2 shown]
	v_mul_f64 v[34:35], v[24:25], s[18:19]
	v_add_f64 v[4:5], v[50:51], v[4:5]
	v_fma_f64 v[42:43], v[32:33], s[24:25], v[60:61]
	v_fma_f64 v[50:51], v[32:33], s[30:31], v[60:61]
	v_add_f64 v[8:9], v[20:21], v[8:9]
	v_mul_f64 v[20:21], v[24:25], s[8:9]
	v_add_f64 v[24:25], v[124:125], -v[146:147]
	v_mul_f64 v[60:61], v[30:31], s[18:19]
	v_fma_f64 v[62:63], v[32:33], s[16:17], v[34:35]
	v_fma_f64 v[34:35], v[32:33], s[28:29], v[34:35]
	v_add_f64 v[28:29], v[42:43], v[28:29]
	v_add_f64 v[2:3], v[50:51], v[2:3]
	v_mul_f64 v[42:43], v[30:31], s[26:27]
	v_fma_f64 v[50:51], v[32:33], s[4:5], v[20:21]
	v_fma_f64 v[20:21], v[32:33], s[34:35], v[20:21]
	;; [unrolled: 1-line block ×3, first 2 shown]
	v_add_f64 v[22:23], v[62:63], v[22:23]
	v_add_f64 v[14:15], v[34:35], v[14:15]
	v_mul_f64 v[34:35], v[30:31], s[14:15]
	v_fma_f64 v[60:61], v[24:25], s[16:17], v[60:61]
	v_fma_f64 v[62:63], v[24:25], s[24:25], v[42:43]
	v_add_f64 v[40:41], v[50:51], v[40:41]
	v_add_f64 v[6:7], v[20:21], v[6:7]
	;; [unrolled: 1-line block ×3, first 2 shown]
	v_fma_f64 v[20:21], v[24:25], s[30:31], v[42:43]
	v_mul_f64 v[32:33], v[30:31], s[8:9]
	v_fma_f64 v[42:43], v[24:25], s[6:7], v[34:35]
	v_add_f64 v[50:51], v[80:81], v[104:105]
	v_fma_f64 v[34:35], v[24:25], s[36:37], v[34:35]
	v_mul_f64 v[30:31], v[30:31], s[22:23]
	v_add_f64 v[12:13], v[60:61], v[12:13]
	v_add_f64 v[4:5], v[62:63], v[4:5]
	v_add_f64 v[8:9], v[20:21], v[8:9]
	v_fma_f64 v[20:21], v[24:25], s[34:35], v[32:33]
	v_add_f64 v[28:29], v[42:43], v[28:29]
	v_add_f64 v[42:43], v[46:47], -v[138:139]
	v_mul_f64 v[46:47], v[50:51], s[22:23]
	v_add_f64 v[2:3], v[34:35], v[2:3]
	v_add_f64 v[34:35], v[0:1], v[126:127]
	v_fma_f64 v[32:33], v[24:25], s[4:5], v[32:33]
	v_fma_f64 v[60:61], v[24:25], s[38:39], v[30:31]
	v_add_f64 v[20:21], v[20:21], v[22:23]
	v_mul_f64 v[22:23], v[50:51], s[18:19]
	v_fma_f64 v[24:25], v[24:25], s[20:21], v[30:31]
	v_fma_f64 v[30:31], v[42:43], s[38:39], v[46:47]
	v_add_u32_e32 v121, 0x800, v233
	v_add_f64 v[34:35], v[34:35], v[92:93]
	v_add_f64 v[14:15], v[32:33], v[14:15]
	;; [unrolled: 1-line block ×3, first 2 shown]
	v_fma_f64 v[40:41], v[42:43], s[20:21], v[46:47]
	v_mul_f64 v[46:47], v[50:51], s[8:9]
	v_fma_f64 v[60:61], v[42:43], s[16:17], v[22:23]
	v_fma_f64 v[22:23], v[42:43], s[28:29], v[22:23]
	v_add_f64 v[6:7], v[24:25], v[6:7]
	v_add_f64 v[10:11], v[30:31], v[10:11]
	v_mul_f64 v[24:25], v[50:51], s[26:27]
	v_add_f64 v[30:31], v[34:35], v[82:83]
	v_add_f64 v[12:13], v[40:41], v[12:13]
	v_fma_f64 v[34:35], v[42:43], s[34:35], v[46:47]
	v_fma_f64 v[40:41], v[42:43], s[4:5], v[46:47]
	v_add_f64 v[8:9], v[22:23], v[8:9]
	v_add_f64 v[22:23], v[98:99], v[108:109]
	v_mul_f64 v[50:51], v[50:51], s[14:15]
	v_fma_f64 v[46:47], v[42:43], s[30:31], v[24:25]
	v_add_f64 v[30:31], v[30:31], v[52:53]
	v_fma_f64 v[24:25], v[42:43], s[24:25], v[24:25]
	v_add_f64 v[28:29], v[34:35], v[28:29]
	v_add_f64 v[34:35], v[84:85], -v[56:57]
	v_add_f64 v[2:3], v[40:41], v[2:3]
	v_mul_f64 v[56:57], v[22:23], s[26:27]
	v_fma_f64 v[40:41], v[42:43], s[6:7], v[50:51]
	v_add_f64 v[20:21], v[46:47], v[20:21]
	v_add_f64 v[30:31], v[30:31], v[122:123]
	v_mul_f64 v[46:47], v[22:23], s[8:9]
	v_add_f64 v[4:5], v[60:61], v[4:5]
	v_fma_f64 v[42:43], v[42:43], s[36:37], v[50:51]
	v_add_f64 v[14:15], v[24:25], v[14:15]
	v_fma_f64 v[24:25], v[34:35], s[30:31], v[56:57]
	v_fma_f64 v[50:51], v[34:35], s[24:25], v[56:57]
	v_mul_f64 v[56:57], v[22:23], s[22:23]
	v_add_f64 v[32:33], v[40:41], v[32:33]
	v_add_f64 v[30:31], v[30:31], v[48:49]
	v_fma_f64 v[40:41], v[34:35], s[4:5], v[46:47]
	v_add_f64 v[6:7], v[42:43], v[6:7]
	v_fma_f64 v[42:43], v[34:35], s[34:35], v[46:47]
	v_add_f64 v[24:25], v[24:25], v[10:11]
	v_add_f64 v[70:71], v[50:51], v[12:13]
	v_fma_f64 v[10:11], v[34:35], s[38:39], v[56:57]
	v_mul_f64 v[12:13], v[22:23], s[14:15]
	v_add_f64 v[30:31], v[30:31], v[54:55]
	v_add_f64 v[80:81], v[40:41], v[4:5]
	;; [unrolled: 1-line block ×4, first 2 shown]
	v_fma_f64 v[8:9], v[34:35], s[20:21], v[56:57]
	v_mul_f64 v[22:23], v[22:23], s[18:19]
	v_add_f64 v[98:99], v[10:11], v[28:29]
	v_fma_f64 v[10:11], v[34:35], s[6:7], v[12:13]
	v_add_f64 v[28:29], v[30:31], v[44:45]
	v_add_f64 v[30:31], v[130:131], -v[190:191]
	v_mul_f64 v[40:41], v[4:5], s[8:9]
	v_fma_f64 v[12:13], v[34:35], s[36:37], v[12:13]
	v_add_f64 v[104:105], v[8:9], v[2:3]
	v_fma_f64 v[2:3], v[34:35], s[28:29], v[22:23]
	v_fma_f64 v[8:9], v[34:35], s[16:17], v[22:23]
	v_add_f64 v[108:109], v[10:11], v[20:21]
	v_mul_f64 v[22:23], v[4:5], s[14:15]
	v_add_f64 v[10:11], v[28:29], v[38:39]
	v_fma_f64 v[20:21], v[30:31], s[34:35], v[40:41]
	v_add_f64 v[124:125], v[12:13], v[14:15]
	v_add_f64 v[14:15], v[92:93], v[38:39]
	v_fma_f64 v[12:13], v[30:31], s[4:5], v[40:41]
	v_add_f64 v[134:135], v[2:3], v[32:33]
	v_add_f64 v[138:139], v[8:9], v[6:7]
	v_mul_f64 v[6:7], v[4:5], s[18:19]
	v_add_f64 v[28:29], v[86:87], -v[186:187]
	v_add_f64 v[8:9], v[0:1], v[20:21]
	v_mul_f64 v[20:21], v[4:5], s[22:23]
	v_mul_f64 v[4:5], v[4:5], s[26:27]
	;; [unrolled: 1-line block ×3, first 2 shown]
	v_fma_f64 v[2:3], v[30:31], s[36:37], v[22:23]
	v_add_f64 v[140:141], v[10:11], v[188:189]
	v_fma_f64 v[10:11], v[30:31], s[6:7], v[22:23]
	v_add_f64 v[12:13], v[0:1], v[12:13]
	v_fma_f64 v[22:23], v[30:31], s[28:29], v[6:7]
	v_fma_f64 v[6:7], v[30:31], s[16:17], v[6:7]
	;; [unrolled: 1-line block ×5, first 2 shown]
	v_mul_f64 v[40:41], v[14:15], s[22:23]
	v_fma_f64 v[4:5], v[30:31], s[24:25], v[4:5]
	v_fma_f64 v[30:31], v[28:29], s[36:37], v[32:33]
	;; [unrolled: 1-line block ×3, first 2 shown]
	v_mul_f64 v[42:43], v[14:15], s[26:27]
	v_add_f64 v[2:3], v[0:1], v[2:3]
	v_add_f64 v[10:11], v[0:1], v[10:11]
	;; [unrolled: 1-line block ×7, first 2 shown]
	v_fma_f64 v[46:47], v[28:29], s[38:39], v[40:41]
	v_add_f64 v[0:1], v[0:1], v[4:5]
	v_add_f64 v[4:5], v[30:31], v[8:9]
	v_fma_f64 v[8:9], v[28:29], s[20:21], v[40:41]
	v_mul_f64 v[30:31], v[14:15], s[18:19]
	v_add_f64 v[12:13], v[32:33], v[12:13]
	v_add_f64 v[32:33], v[82:83], v[44:45]
	v_fma_f64 v[40:41], v[28:29], s[24:25], v[42:43]
	v_mul_f64 v[14:15], v[14:15], s[8:9]
	v_fma_f64 v[42:43], v[28:29], s[30:31], v[42:43]
	v_add_f64 v[2:3], v[46:47], v[2:3]
	v_add_f64 v[8:9], v[8:9], v[10:11]
	v_fma_f64 v[10:11], v[28:29], s[16:17], v[30:31]
	v_add_f64 v[44:45], v[76:77], -v[184:185]
	v_mul_f64 v[46:47], v[32:33], s[18:19]
	v_add_f64 v[22:23], v[40:41], v[22:23]
	v_fma_f64 v[30:31], v[28:29], s[28:29], v[30:31]
	v_fma_f64 v[40:41], v[28:29], s[4:5], v[14:15]
	v_add_f64 v[6:7], v[42:43], v[6:7]
	v_mul_f64 v[42:43], v[32:33], s[26:27]
	v_fma_f64 v[14:15], v[28:29], s[34:35], v[14:15]
	v_add_f64 v[10:11], v[10:11], v[34:35]
	v_fma_f64 v[28:29], v[44:45], s[28:29], v[46:47]
	v_fma_f64 v[34:35], v[44:45], s[16:17], v[46:47]
	v_add_f64 v[20:21], v[30:31], v[20:21]
	v_add_f64 v[30:31], v[40:41], v[38:39]
	v_mul_f64 v[38:39], v[32:33], s[14:15]
	v_fma_f64 v[40:41], v[44:45], s[24:25], v[42:43]
	v_add_f64 v[0:1], v[14:15], v[0:1]
	v_add_f64 v[14:15], v[52:53], v[54:55]
	v_fma_f64 v[42:43], v[44:45], s[30:31], v[42:43]
	v_add_f64 v[4:5], v[28:29], v[4:5]
	v_add_f64 v[12:13], v[34:35], v[12:13]
	v_mul_f64 v[28:29], v[32:33], s[8:9]
	v_fma_f64 v[34:35], v[44:45], s[6:7], v[38:39]
	v_add_f64 v[2:3], v[40:41], v[2:3]
	v_fma_f64 v[38:39], v[44:45], s[36:37], v[38:39]
	v_mul_f64 v[40:41], v[14:15], s[22:23]
	v_add_f64 v[8:9], v[42:43], v[8:9]
	v_mul_f64 v[32:33], v[32:33], s[22:23]
	v_add_u32_e32 v120, 0x1800, v233
	v_fma_f64 v[42:43], v[44:45], s[34:35], v[28:29]
	v_add_f64 v[22:23], v[34:35], v[22:23]
	v_fma_f64 v[28:29], v[44:45], s[4:5], v[28:29]
	v_mul_f64 v[34:35], v[14:15], s[18:19]
	v_add_f64 v[6:7], v[38:39], v[6:7]
	v_fma_f64 v[38:39], v[36:37], s[38:39], v[40:41]
	v_fma_f64 v[46:47], v[44:45], s[38:39], v[32:33]
	;; [unrolled: 1-line block ×3, first 2 shown]
	v_add_f64 v[10:11], v[42:43], v[10:11]
	v_mul_f64 v[42:43], v[14:15], s[8:9]
	v_add_f64 v[20:21], v[28:29], v[20:21]
	v_fma_f64 v[28:29], v[36:37], s[16:17], v[34:35]
	v_fma_f64 v[40:41], v[36:37], s[20:21], v[40:41]
	v_add_f64 v[4:5], v[38:39], v[4:5]
	v_add_f64 v[38:39], v[122:123], v[48:49]
	;; [unrolled: 1-line block ×4, first 2 shown]
	v_mul_f64 v[32:33], v[14:15], s[26:27]
	v_mul_f64 v[14:15], v[14:15], s[14:15]
	v_add_f64 v[2:3], v[28:29], v[2:3]
	v_fma_f64 v[28:29], v[36:37], s[28:29], v[34:35]
	v_fma_f64 v[34:35], v[36:37], s[34:35], v[42:43]
	v_add_f64 v[44:45], v[72:73], -v[58:59]
	v_mul_f64 v[46:47], v[38:39], s[26:27]
	v_add_f64 v[12:13], v[40:41], v[12:13]
	v_fma_f64 v[40:41], v[36:37], s[4:5], v[42:43]
	v_fma_f64 v[42:43], v[36:37], s[30:31], v[32:33]
	;; [unrolled: 1-line block ×3, first 2 shown]
	v_add_f64 v[8:9], v[28:29], v[8:9]
	v_add_f64 v[22:23], v[34:35], v[22:23]
	v_fma_f64 v[28:29], v[36:37], s[6:7], v[14:15]
	v_fma_f64 v[14:15], v[36:37], s[36:37], v[14:15]
	;; [unrolled: 1-line block ×3, first 2 shown]
	v_mul_f64 v[36:37], v[38:39], s[8:9]
	v_add_f64 v[10:11], v[42:43], v[10:11]
	v_add_f64 v[20:21], v[32:33], v[20:21]
	v_fma_f64 v[32:33], v[44:45], s[24:25], v[46:47]
	v_add_f64 v[6:7], v[40:41], v[6:7]
	v_add_f64 v[28:29], v[28:29], v[30:31]
	v_mul_f64 v[30:31], v[38:39], s[22:23]
	v_add_f64 v[0:1], v[14:15], v[0:1]
	v_mul_f64 v[14:15], v[38:39], s[14:15]
	;; [unrolled: 2-line block ×3, first 2 shown]
	v_add_f64 v[86:87], v[32:33], v[12:13]
	v_fma_f64 v[12:13], v[44:45], s[4:5], v[36:37]
	v_fma_f64 v[32:33], v[44:45], s[34:35], v[36:37]
	v_fma_f64 v[34:35], v[44:45], s[38:39], v[30:31]
	v_fma_f64 v[30:31], v[44:45], s[20:21], v[30:31]
	v_fma_f64 v[36:37], v[44:45], s[6:7], v[14:15]
	v_fma_f64 v[14:15], v[44:45], s[36:37], v[14:15]
	v_fma_f64 v[38:39], v[44:45], s[28:29], v[4:5]
	v_fma_f64 v[4:5], v[44:45], s[16:17], v[4:5]
	v_add_u32_e32 v130, 0x2000, v233
	v_add_u32_e32 v122, 0x3000, v233
	v_add_f64 v[92:93], v[12:13], v[2:3]
	v_add_f64 v[146:147], v[32:33], v[8:9]
	;; [unrolled: 1-line block ×6, first 2 shown]
	ds_read2_b64 v[12:15], v233 offset1:55
	ds_read2_b64 v[0:3], v121 offset0:74 offset1:129
	ds_read2_b64 v[72:75], v120 offset0:2 offset1:57
	;; [unrolled: 1-line block ×9, first 2 shown]
	v_add_f64 v[166:167], v[38:39], v[28:29]
	v_add_u32_e32 v28, 0x1c00, v233
	buffer_store_dword v28, off, s[40:43], 0 offset:24 ; 4-byte Folded Spill
	ds_read2_b64 v[40:43], v28 offset0:94 offset1:149
	v_add_u32_e32 v28, 0x3400, v233
	v_add_u32_e32 v123, 0x1000, v233
	;; [unrolled: 1-line block ×4, first 2 shown]
	buffer_store_dword v28, off, s[40:43], 0 offset:28 ; 4-byte Folded Spill
	v_add_f64 v[158:159], v[30:31], v[6:7]
	ds_read2_b64 v[48:51], v123 offset0:38 offset1:93
	ds_read2_b64 v[44:47], v220 offset0:40 offset1:95
	;; [unrolled: 1-line block ×6, first 2 shown]
	ds_read_b64 v[84:85], v233 offset:14960
	s_waitcnt lgkmcnt(0)
	buffer_store_dword v84, off, s[40:43], 0 offset:32 ; 4-byte Folded Spill
	s_nop 0
	buffer_store_dword v85, off, s[40:43], 0 offset:36 ; 4-byte Folded Spill
	s_waitcnt lgkmcnt(0)
	; wave barrier
	ds_write2_b64 v223, v[102:103], v[118:119] offset1:7
	ds_write2_b64 v223, v[174:175], v[144:145] offset0:14 offset1:21
	ds_write2_b64 v223, v[152:153], v[156:157] offset0:28 offset1:35
	ds_write2_b64 v223, v[160:161], v[154:155] offset0:42 offset1:49
	ds_write2_b64 v223, v[148:149], v[132:133] offset0:56 offset1:63
	ds_write_b64 v223, v[114:115] offset:560
	ds_write2_b64 v228, v[142:143], v[24:25] offset1:7
	ds_write2_b64 v228, v[80:81], v[98:99] offset0:14 offset1:21
	ds_write2_b64 v228, v[108:109], v[134:135] offset0:28 offset1:35
	ds_write2_b64 v228, v[138:139], v[124:125] offset0:42 offset1:49
	ds_write2_b64 v228, v[104:105], v[88:89] offset0:56 offset1:63
	ds_write_b64 v228, v[70:71] offset:560
	;; [unrolled: 6-line block ×3, first 2 shown]
	s_and_saveexec_b64 s[4:5], s[0:1]
	s_cbranch_execz .LBB0_21
; %bb.20:
	buffer_load_dword v84, off, s[40:43], 0 offset:8 ; 4-byte Folded Reload
	buffer_load_dword v85, off, s[40:43], 0 offset:12 ; 4-byte Folded Reload
	v_add_f64 v[24:25], v[68:69], v[180:181]
	v_add_f64 v[70:71], v[180:181], v[18:19]
	s_mov_b32 s16, 0xd9c712b6
	s_mov_b32 s22, 0x640f44db
	;; [unrolled: 1-line block ×6, first 2 shown]
	v_add_f64 v[24:25], v[24:25], v[110:111]
	s_mov_b32 s29, 0xbfe4f49e
	s_mov_b32 s35, 0xbfeeb42a
	v_add_f64 v[80:81], v[178:179], -v[196:197]
	v_add_f64 v[82:83], v[110:111], v[192:193]
	v_mul_f64 v[88:89], v[70:71], s[8:9]
	v_mul_f64 v[92:93], v[70:71], s[16:17]
	;; [unrolled: 1-line block ×3, first 2 shown]
	v_add_f64 v[24:25], v[24:25], v[90:91]
	v_mul_f64 v[102:103], v[70:71], s[28:29]
	v_mul_f64 v[70:71], v[70:71], s[34:35]
	s_mov_b32 s30, 0xfd768dbf
	s_mov_b32 s31, 0x3fd207e7
	;; [unrolled: 1-line block ×4, first 2 shown]
	v_add_f64 v[86:87], v[106:107], -v[194:195]
	v_mul_f64 v[106:107], v[82:83], s[28:29]
	v_mul_f64 v[108:109], v[82:83], s[34:35]
	v_fma_f64 v[131:132], v[80:81], s[30:31], v[70:71]
	v_fma_f64 v[70:71], v[80:81], s[36:37], v[70:71]
	s_mov_b32 s38, 0xbb3a28a1
	s_mov_b32 s27, 0xbfe82f19
	;; [unrolled: 1-line block ×4, first 2 shown]
	v_fma_f64 v[133:134], v[86:87], s[38:39], v[106:107]
	s_mov_b32 s1, 0x3fe14ced
	v_mul_f64 v[104:105], v[82:83], s[16:17]
	v_fma_f64 v[110:111], v[80:81], s[0:1], v[88:89]
	s_mov_b32 s14, 0x8eee2c13
	s_mov_b32 s20, 0x43842ef
	;; [unrolled: 1-line block ×10, first 2 shown]
	v_fma_f64 v[88:89], v[80:81], s[6:7], v[88:89]
	v_fma_f64 v[114:115], v[80:81], s[14:15], v[92:93]
	;; [unrolled: 1-line block ×8, first 2 shown]
	v_add_f64 v[110:111], v[68:69], v[110:111]
	v_fma_f64 v[104:105], v[86:87], s[18:19], v[104:105]
	v_add_f64 v[88:89], v[68:69], v[88:89]
	v_add_f64 v[114:115], v[68:69], v[114:115]
	;; [unrolled: 1-line block ×10, first 2 shown]
	v_add_f64 v[26:27], v[94:95], -v[26:27]
	s_waitcnt vmcnt(0)
	v_add_f64 v[24:25], v[24:25], v[84:85]
	v_add_f64 v[24:25], v[24:25], v[96:97]
	;; [unrolled: 1-line block ×4, first 2 shown]
	v_mul_f64 v[94:95], v[96:97], s[34:35]
	v_add_f64 v[24:25], v[24:25], v[116:117]
	v_add_f64 v[24:25], v[24:25], v[16:17]
	;; [unrolled: 1-line block ×3, first 2 shown]
	v_fma_f64 v[90:91], v[86:87], s[36:37], v[108:109]
	v_add_f64 v[24:25], v[24:25], v[192:193]
	v_add_f64 v[90:91], v[90:91], v[118:119]
	;; [unrolled: 1-line block ×4, first 2 shown]
	v_fma_f64 v[70:71], v[86:87], s[26:27], v[106:107]
	v_fma_f64 v[106:107], v[86:87], s[30:31], v[108:109]
	buffer_load_dword v108, off, s[40:43], 0 offset:16 ; 4-byte Folded Reload
	buffer_load_dword v109, off, s[40:43], 0 offset:20 ; 4-byte Folded Reload
	v_add_f64 v[68:69], v[80:81], v[110:111]
	v_mul_f64 v[80:81], v[82:83], s[22:23]
	v_mul_f64 v[82:83], v[82:83], s[8:9]
	;; [unrolled: 1-line block ×3, first 2 shown]
	v_add_f64 v[70:71], v[70:71], v[92:93]
	v_add_f64 v[98:99], v[106:107], v[98:99]
	v_mul_f64 v[106:107], v[16:17], s[34:35]
	v_fma_f64 v[92:93], v[86:87], s[24:25], v[80:81]
	v_fma_f64 v[80:81], v[86:87], s[20:21], v[80:81]
	;; [unrolled: 1-line block ×4, first 2 shown]
	v_add_f64 v[92:93], v[92:93], v[124:125]
	v_add_f64 v[80:81], v[80:81], v[102:103]
	;; [unrolled: 1-line block ×3, first 2 shown]
	v_mul_f64 v[114:115], v[16:17], s[16:17]
	v_add_f64 v[24:25], v[82:83], v[24:25]
	s_waitcnt vmcnt(0)
	v_add_f64 v[108:109], v[108:109], -v[176:177]
	v_fma_f64 v[86:87], v[108:109], s[20:21], v[110:111]
	v_fma_f64 v[110:111], v[108:109], s[24:25], v[110:111]
	;; [unrolled: 1-line block ×4, first 2 shown]
	v_add_f64 v[68:69], v[86:87], v[68:69]
	v_add_f64 v[86:87], v[84:85], v[116:117]
	buffer_load_dword v84, off, s[40:43], 0 ; 4-byte Folded Reload
	buffer_load_dword v85, off, s[40:43], 0 offset:4 ; 4-byte Folded Reload
	v_add_f64 v[82:83], v[110:111], v[88:89]
	v_mul_f64 v[88:89], v[16:17], s[8:9]
	v_fma_f64 v[110:111], v[108:109], s[18:19], v[114:115]
	v_add_f64 v[70:71], v[106:107], v[70:71]
	v_mul_f64 v[16:17], v[16:17], s[28:29]
	v_fma_f64 v[106:107], v[108:109], s[14:15], v[114:115]
	v_mul_f64 v[114:115], v[86:87], s[28:29]
	v_add_f64 v[104:105], v[118:119], v[104:105]
	v_fma_f64 v[116:117], v[108:109], s[0:1], v[88:89]
	v_add_f64 v[90:91], v[110:111], v[90:91]
	v_fma_f64 v[88:89], v[108:109], s[6:7], v[88:89]
	v_mul_f64 v[110:111], v[86:87], s[22:23]
	v_fma_f64 v[118:119], v[108:109], s[38:39], v[16:17]
	v_add_f64 v[98:99], v[106:107], v[98:99]
	v_fma_f64 v[16:17], v[108:109], s[26:27], v[16:17]
	v_add_f64 v[92:93], v[116:117], v[92:93]
	v_add_f64 v[80:81], v[88:89], v[80:81]
	v_add_f64 v[102:103], v[118:119], v[102:103]
	v_add_f64 v[16:17], v[16:17], v[24:25]
	s_waitcnt vmcnt(0)
	v_add_f64 v[112:113], v[84:85], -v[112:113]
	v_fma_f64 v[106:107], v[112:113], s[38:39], v[114:115]
	v_fma_f64 v[108:109], v[112:113], s[26:27], v[114:115]
	;; [unrolled: 1-line block ×3, first 2 shown]
	v_mul_f64 v[114:115], v[86:87], s[8:9]
	v_fma_f64 v[100:101], v[112:113], s[20:21], v[110:111]
	v_add_f64 v[24:25], v[106:107], v[68:69]
	v_mul_f64 v[68:69], v[86:87], s[34:35]
	v_mul_f64 v[86:87], v[86:87], s[16:17]
	v_add_f64 v[82:83], v[108:109], v[82:83]
	v_add_f64 v[88:89], v[88:89], v[104:105]
	v_fma_f64 v[104:105], v[112:113], s[0:1], v[114:115]
	v_add_f64 v[70:71], v[100:101], v[70:71]
	v_fma_f64 v[106:107], v[112:113], s[6:7], v[114:115]
	v_fma_f64 v[108:109], v[112:113], s[30:31], v[68:69]
	;; [unrolled: 1-line block ×5, first 2 shown]
	v_add_f64 v[90:91], v[104:105], v[90:91]
	v_fma_f64 v[104:105], v[26:27], s[30:31], v[94:95]
	v_add_f64 v[98:99], v[106:107], v[98:99]
	v_add_f64 v[92:93], v[108:109], v[92:93]
	;; [unrolled: 1-line block ×3, first 2 shown]
	v_fma_f64 v[80:81], v[26:27], s[36:37], v[94:95]
	v_mul_f64 v[94:95], v[96:97], s[8:9]
	v_add_f64 v[100:101], v[100:101], v[102:103]
	v_mul_f64 v[102:103], v[96:97], s[28:29]
	v_add_f64 v[16:17], v[86:87], v[16:17]
	v_mul_f64 v[86:87], v[96:97], s[16:17]
	v_mul_f64 v[96:97], v[96:97], s[22:23]
	v_add_f64 v[24:25], v[104:105], v[24:25]
	v_add_f64 v[80:81], v[80:81], v[82:83]
	v_fma_f64 v[82:83], v[26:27], s[6:7], v[94:95]
	v_fma_f64 v[94:95], v[26:27], s[0:1], v[94:95]
	v_fma_f64 v[104:105], v[26:27], s[38:39], v[102:103]
	v_fma_f64 v[102:103], v[26:27], s[26:27], v[102:103]
	v_fma_f64 v[106:107], v[26:27], s[18:19], v[86:87]
	v_fma_f64 v[86:87], v[26:27], s[14:15], v[86:87]
	v_fma_f64 v[108:109], v[26:27], s[20:21], v[96:97]
	v_fma_f64 v[26:27], v[26:27], s[24:25], v[96:97]
	v_add_f64 v[82:83], v[82:83], v[88:89]
	v_add_f64 v[70:71], v[94:95], v[70:71]
	;; [unrolled: 1-line block ×8, first 2 shown]
	v_mov_b32_e32 v27, 3
	v_mul_u32_u24_e32 v26, 0x268, v221
	v_lshlrev_b32_sdwa v27, v27, v222 dst_sel:DWORD dst_unused:UNUSED_PAD src0_sel:DWORD src1_sel:BYTE_0
	v_add3_u32 v26, 0, v26, v27
	ds_write2_b64 v26, v[18:19], v[24:25] offset1:7
	ds_write2_b64 v26, v[82:83], v[88:89] offset0:14 offset1:21
	ds_write2_b64 v26, v[92:93], v[86:87] offset0:28 offset1:35
	;; [unrolled: 1-line block ×4, first 2 shown]
	ds_write_b64 v26, v[80:81] offset:560
.LBB0_21:
	s_or_b64 exec, exec, s[4:5]
	v_lshlrev_b32_e32 v124, 2, v232
	v_mov_b32_e32 v125, 0
	v_lshlrev_b64 v[16:17], 4, v[124:125]
	v_mov_b32_e32 v18, s13
	v_add_co_u32_e64 v116, s[0:1], s12, v16
	v_addc_co_u32_e64 v117, s[0:1], v18, v17, s[0:1]
	v_subrev_u32_e32 v16, 22, v232
	v_cmp_gt_u32_e64 s[0:1], 22, v232
	v_cndmask_b32_e64 v16, v16, v219, s[0:1]
	v_lshlrev_b32_e32 v124, 2, v16
	s_waitcnt lgkmcnt(0)
	; wave barrier
	s_waitcnt lgkmcnt(0)
	global_load_dwordx4 v[86:89], v[116:117], off offset:1168
	global_load_dwordx4 v[90:93], v[116:117], off offset:1136
	;; [unrolled: 1-line block ×3, first 2 shown]
	v_add_u32_e32 v118, 0x113, v232
	buffer_store_dword v16, off, s[40:43], 0 ; 4-byte Folded Spill
	v_lshlrev_b64 v[16:17], 4, v[124:125]
	v_add_u32_e32 v115, 0xdc, v232
	v_add_co_u32_e64 v24, s[0:1], s12, v16
	v_addc_co_u32_e64 v25, s[0:1], v18, v17, s[0:1]
	global_load_dwordx4 v[98:101], v[24:25], off offset:1120
	global_load_dwordx4 v[102:105], v[24:25], off offset:1136
	;; [unrolled: 1-line block ×3, first 2 shown]
	s_movk_i32 s0, 0xd5
	v_mul_lo_u16_sdwa v16, v255, s0 dst_sel:DWORD dst_unused:UNUSED_PAD src0_sel:BYTE_0 src1_sel:DWORD
	v_lshrrev_b16_e32 v16, 14, v16
	buffer_store_dword v16, off, s[40:43], 0 offset:8 ; 4-byte Folded Spill
	v_mul_lo_u16_e32 v16, 0x4d, v16
	v_sub_u16_e32 v131, v255, v16
	v_mov_b32_e32 v16, 6
	v_lshlrev_b32_sdwa v26, v16, v131 dst_sel:DWORD dst_unused:UNUSED_PAD src0_sel:DWORD src1_sel:BYTE_0
	global_load_dwordx4 v[110:113], v26, s[12:13] offset:1120
	global_load_dwordx4 v[138:141], v[116:117], off offset:1152
	ds_read2_b64 v[80:83], v233 offset1:55
	ds_read2_b64 v[16:19], v121 offset0:74 offset1:129
	ds_read2_b64 v[142:145], v120 offset0:2 offset1:57
	;; [unrolled: 1-line block ×3, first 2 shown]
	global_load_dwordx4 v[150:153], v[24:25], off offset:1152
	ds_read2_b64 v[154:157], v122 offset0:4 offset1:59
	ds_read2_b64 v[158:161], v121 offset0:184 offset1:239
	ds_read2_b64 v[162:165], v130 offset0:186 offset1:241
	v_add_u32_e32 v25, 0xa5, v232
	v_mul_lo_u16_sdwa v24, v25, s0 dst_sel:DWORD dst_unused:UNUSED_PAD src0_sel:BYTE_0 src1_sel:DWORD
	global_load_dwordx4 v[166:169], v26, s[12:13] offset:1136
	ds_read2_b64 v[68:71], v233 offset0:110 offset1:165
	global_load_dwordx4 v[170:173], v26, s[12:13] offset:1168
	global_load_dwordx4 v[174:177], v26, s[12:13] offset:1152
	v_lshrrev_b16_e32 v24, 14, v24
	v_mul_lo_u16_e32 v24, 0x4d, v24
	v_sub_u16_e32 v24, v25, v24
	s_movk_i32 s0, 0x1a99
	v_and_b32_e32 v24, 0xff, v24
	v_mul_u32_u24_sdwa v85, v115, s0 dst_sel:DWORD dst_unused:UNUSED_PAD src0_sel:WORD_0 src1_sel:DWORD
	v_mul_u32_u24_sdwa v114, v118, s0 dst_sel:DWORD dst_unused:UNUSED_PAD src0_sel:WORD_0 src1_sel:DWORD
	buffer_store_dword v25, off, s[40:43], 0 offset:72 ; 4-byte Folded Spill
	buffer_store_dword v24, off, s[40:43], 0 offset:16 ; 4-byte Folded Spill
	v_lshlrev_b32_e32 v84, 6, v24
	v_lshrrev_b32_e32 v85, 19, v85
	v_lshrrev_b32_e32 v114, 19, v114
	global_load_dwordx4 v[178:181], v84, s[12:13] offset:1136
	ds_read2_b64 v[182:185], v120 offset0:112 offset1:167
	ds_read2_b64 v[186:189], v122 offset0:114 offset1:169
	;; [unrolled: 1-line block ×5, first 2 shown]
	buffer_store_dword v85, off, s[40:43], 0 offset:44 ; 4-byte Folded Spill
	buffer_store_dword v114, off, s[40:43], 0 offset:40 ; 4-byte Folded Spill
	global_load_dwordx4 v[198:201], v84, s[12:13] offset:1120
	v_mul_lo_u16_e32 v85, 0x4d, v85
	global_load_dwordx4 v[202:205], v84, s[12:13] offset:1168
	global_load_dwordx4 v[206:209], v84, s[12:13] offset:1152
	v_mul_lo_u16_e32 v84, 0x4d, v114
	v_sub_u16_e32 v114, v115, v85
	v_sub_u16_e32 v85, v118, v84
	buffer_store_dword v115, off, s[40:43], 0 offset:76 ; 4-byte Folded Spill
	buffer_store_dword v114, off, s[40:43], 0 offset:48 ; 4-byte Folded Spill
	;; [unrolled: 1-line block ×4, first 2 shown]
	v_lshlrev_b32_e32 v84, 6, v114
	global_load_dwordx4 v[210:213], v84, s[12:13] offset:1168
	global_load_dwordx4 v[214:217], v84, s[12:13] offset:1152
	global_load_dwordx4 v[228:231], v84, s[12:13] offset:1136
	global_load_dwordx4 v[234:237], v84, s[12:13] offset:1120
	v_mov_b32_e32 v135, v121
	buffer_store_dword v255, off, s[40:43], 0 offset:68 ; 4-byte Folded Spill
	buffer_store_dword v219, off, s[40:43], 0 offset:64 ; 4-byte Folded Spill
	v_add_u32_e32 v119, 0x14a, v232
	v_mov_b32_e32 v223, v122
	v_mov_b32_e32 v118, v123
	;; [unrolled: 1-line block ×3, first 2 shown]
	s_mov_b32 s4, 0x134454ff
	s_mov_b32 s5, 0xbfee6f0e
	s_mov_b32 s6, 0x4755a5e
	s_mov_b32 s7, 0xbfe2cf23
	s_mov_b32 s9, 0x3fee6f0e
	s_mov_b32 s8, s4
	s_mov_b32 s15, 0x3fe2cf23
	s_mov_b32 s14, s6
	s_mov_b32 s16, 0x372fe950
	s_mov_b32 s17, 0x3fd3c6ef
	s_waitcnt vmcnt(31) lgkmcnt(8)
	v_mul_f64 v[240:241], v[154:155], v[88:89]
	s_waitcnt vmcnt(30)
	v_mul_f64 v[238:239], v[142:143], v[92:93]
	v_mul_f64 v[92:93], v[72:73], v[92:93]
	;; [unrolled: 1-line block ×3, first 2 shown]
	s_waitcnt vmcnt(29)
	v_mul_f64 v[221:222], v[18:19], v[96:97]
	v_fma_f64 v[218:219], v[76:77], v[86:87], v[240:241]
	v_lshlrev_b32_e32 v76, 6, v85
	s_waitcnt vmcnt(26)
	v_mul_f64 v[248:249], v[144:145], v[104:105]
	v_mul_f64 v[104:105], v[74:75], v[104:105]
	s_waitcnt vmcnt(25)
	v_mul_f64 v[250:251], v[156:157], v[108:109]
	v_mul_f64 v[108:109], v[78:79], v[108:109]
	v_fma_f64 v[252:253], v[72:73], v[90:91], v[238:239]
	global_load_dwordx4 v[238:241], v76, s[12:13] offset:1136
	global_load_dwordx4 v[242:245], v76, s[12:13] offset:1120
	s_waitcnt lgkmcnt(7)
	v_mul_f64 v[246:247], v[158:159], v[100:101]
	buffer_store_dword v120, off, s[40:43], 0 offset:56 ; 4-byte Folded Spill
	v_fma_f64 v[254:255], v[142:143], v[90:91], -v[92:93]
	v_fma_f64 v[114:115], v[74:75], v[102:103], v[248:249]
	v_mul_f64 v[72:73], v[64:65], v[100:101]
	v_fma_f64 v[120:121], v[144:145], v[102:103], -v[104:105]
	global_load_dwordx4 v[102:105], v76, s[12:13] offset:1168
	global_load_dwordx4 v[142:145], v76, s[12:13] offset:1152
	s_waitcnt vmcnt(28)
	v_mul_f64 v[74:75], v[160:161], v[112:113]
	v_mul_f64 v[76:77], v[66:67], v[112:113]
	v_fma_f64 v[250:251], v[78:79], v[106:107], v[250:251]
	v_mul_u32_u24_sdwa v78, v119, s0 dst_sel:DWORD dst_unused:UNUSED_PAD src0_sel:WORD_0 src1_sel:DWORD
	v_lshrrev_b32_e32 v78, 19, v78
	v_mul_lo_u16_e32 v78, 0x4d, v78
	v_sub_u16_e32 v134, v119, v78
	buffer_store_dword v119, off, s[40:43], 0 offset:84 ; 4-byte Folded Spill
	v_lshlrev_b32_e32 v78, 6, v134
	v_fma_f64 v[128:129], v[154:155], v[86:87], -v[88:89]
	v_fma_f64 v[122:123], v[156:157], v[106:107], -v[108:109]
	global_load_dwordx4 v[106:109], v78, s[12:13] offset:1136
	global_load_dwordx4 v[154:157], v78, s[12:13] offset:1120
	v_fma_f64 v[136:137], v[64:65], v[98:99], v[246:247]
	buffer_store_dword v126, off, s[40:43], 0 offset:60 ; 4-byte Folded Spill
	v_fma_f64 v[126:127], v[158:159], v[98:99], -v[72:73]
	v_mov_b32_e32 v119, v232
	v_fma_f64 v[232:233], v[66:67], v[110:111], v[74:75]
	v_fma_f64 v[110:111], v[160:161], v[110:111], -v[76:77]
	global_load_dwordx4 v[158:161], v78, s[12:13] offset:1168
	global_load_dwordx4 v[246:249], v78, s[12:13] offset:1152
	buffer_load_dword v133, off, s[40:43], 0 offset:24 ; 4-byte Folded Reload
	buffer_load_dword v132, off, s[40:43], 0 offset:28 ; 4-byte Folded Reload
	v_fma_f64 v[221:222], v[2:3], v[94:95], v[221:222]
	v_mul_f64 v[2:3], v[2:3], v[96:97]
	s_waitcnt vmcnt(35)
	v_mul_f64 v[64:65], v[148:149], v[140:141]
	v_mul_f64 v[66:67], v[22:23], v[140:141]
	s_waitcnt vmcnt(34) lgkmcnt(6)
	v_mul_f64 v[72:73], v[162:163], v[152:153]
	v_mul_f64 v[74:75], v[60:61], v[152:153]
	v_fma_f64 v[152:153], v[18:19], v[94:95], -v[2:3]
	v_fma_f64 v[84:85], v[22:23], v[138:139], v[64:65]
	s_waitcnt vmcnt(33) lgkmcnt(4)
	v_mul_f64 v[2:3], v[182:183], v[168:169]
	s_waitcnt vmcnt(31)
	v_mul_f64 v[22:23], v[164:165], v[176:177]
	v_mul_f64 v[18:19], v[56:57], v[168:169]
	v_fma_f64 v[168:169], v[60:61], v[150:151], v[72:73]
	v_fma_f64 v[150:151], v[162:163], v[150:151], -v[74:75]
	v_mul_f64 v[72:73], v[62:63], v[176:177]
	v_fma_f64 v[148:149], v[148:149], v[138:139], -v[66:67]
	ds_read2_b64 v[138:141], v220 offset0:150 offset1:205
	v_fma_f64 v[162:163], v[56:57], v[166:167], v[2:3]
	s_waitcnt vmcnt(28)
	v_mul_f64 v[2:3], v[184:185], v[180:181]
	v_fma_f64 v[176:177], v[62:63], v[174:175], v[22:23]
	s_waitcnt lgkmcnt(4)
	v_mul_f64 v[22:23], v[186:187], v[172:173]
	v_fma_f64 v[166:167], v[182:183], v[166:167], -v[18:19]
	v_mul_f64 v[18:19], v[58:59], v[180:181]
	v_fma_f64 v[164:165], v[164:165], v[174:175], -v[72:73]
	v_mul_f64 v[56:57], v[52:53], v[172:173]
	ds_read2_b64 v[94:97], v118 offset0:148 offset1:203
	v_fma_f64 v[172:173], v[58:59], v[178:179], v[2:3]
	s_waitcnt vmcnt(25) lgkmcnt(4)
	v_mul_f64 v[2:3], v[190:191], v[200:201]
	v_fma_f64 v[174:175], v[52:53], v[170:171], v[22:23]
	s_waitcnt vmcnt(23) lgkmcnt(3)
	v_mul_f64 v[22:23], v[194:195], v[208:209]
	v_fma_f64 v[100:101], v[184:185], v[178:179], -v[18:19]
	v_mul_f64 v[18:19], v[48:49], v[200:201]
	v_mul_f64 v[52:53], v[44:45], v[208:209]
	ds_read_b64 v[180:181], v124 offset:14960
	v_fma_f64 v[170:171], v[186:187], v[170:171], -v[56:57]
	v_fma_f64 v[178:179], v[48:49], v[198:199], v[2:3]
	s_waitcnt vmcnt(17)
	v_mul_f64 v[48:49], v[196:197], v[216:217]
	v_fma_f64 v[182:183], v[44:45], v[206:207], v[22:23]
	s_waitcnt vmcnt(16)
	v_mul_f64 v[44:45], v[40:41], v[230:231]
	s_waitcnt vmcnt(15)
	v_mul_f64 v[2:3], v[192:193], v[236:237]
	v_fma_f64 v[184:185], v[194:195], v[206:207], -v[52:53]
	v_mul_f64 v[52:53], v[46:47], v[216:217]
	v_fma_f64 v[112:113], v[190:191], v[198:199], -v[18:19]
	v_mul_f64 v[18:19], v[50:51], v[236:237]
	v_fma_f64 v[88:89], v[46:47], v[214:215], v[48:49]
	v_mul_f64 v[56:57], v[188:189], v[204:205]
	v_mul_f64 v[58:59], v[54:55], v[204:205]
	v_fma_f64 v[92:93], v[50:51], v[234:235], v[2:3]
	v_mul_f64 v[50:51], v[36:37], v[212:213]
	v_fma_f64 v[76:77], v[196:197], v[214:215], -v[52:53]
	v_mov_b32_e32 v194, v124
	v_fma_f64 v[72:73], v[192:193], v[234:235], -v[18:19]
	s_waitcnt vmcnt(11) lgkmcnt(1)
	v_mul_f64 v[18:19], v[94:95], v[244:245]
	v_fma_f64 v[186:187], v[54:55], v[202:203], v[56:57]
	v_add_f64 v[54:55], v[152:153], -v[128:129]
	v_fma_f64 v[98:99], v[188:189], v[202:203], -v[58:59]
	s_waitcnt vmcnt(8)
	v_mul_f64 v[46:47], v[138:139], v[144:145]
	v_mul_f64 v[48:49], v[28:29], v[144:145]
	v_add_f64 v[144:145], v[82:83], v[126:127]
	v_mov_b32_e32 v193, v119
	v_fma_f64 v[56:57], v[32:33], v[242:243], v[18:19]
	v_cmp_lt_u32_e64 s[0:1], 21, v193
	v_fma_f64 v[46:47], v[28:29], v[142:143], v[46:47]
	s_waitcnt vmcnt(6)
	v_mul_f64 v[28:29], v[146:147], v[108:109]
	v_fma_f64 v[28:29], v[20:21], v[106:107], v[28:29]
	s_waitcnt vmcnt(1)
	ds_read2_b64 v[64:67], v133 offset0:94 offset1:149
	s_waitcnt vmcnt(0)
	ds_read2_b64 v[60:63], v132 offset0:96 offset1:151
	v_mul_f64 v[52:53], v[30:31], v[248:249]
	s_waitcnt lgkmcnt(1)
	v_mul_f64 v[22:23], v[64:65], v[230:231]
	v_fma_f64 v[74:75], v[64:65], v[228:229], -v[44:45]
	s_waitcnt lgkmcnt(0)
	v_mul_f64 v[2:3], v[60:61], v[212:213]
	v_fma_f64 v[78:79], v[60:61], v[210:211], -v[50:51]
	v_mul_f64 v[18:19], v[62:63], v[104:105]
	v_add_f64 v[50:51], v[252:253], v[84:85]
	v_add_f64 v[60:61], v[254:255], -v[148:149]
	v_add_f64 v[64:65], v[221:222], -v[252:253]
	v_fma_f64 v[86:87], v[40:41], v[228:229], v[22:23]
	v_mul_f64 v[22:23], v[66:67], v[240:241]
	v_mul_f64 v[40:41], v[42:43], v[240:241]
	v_fma_f64 v[90:91], v[36:37], v[210:211], v[2:3]
	v_mul_f64 v[2:3], v[32:33], v[244:245]
	v_mul_f64 v[32:33], v[38:39], v[104:105]
	v_fma_f64 v[50:51], v[50:51], -0.5, v[12:13]
	v_fma_f64 v[44:45], v[42:43], v[238:239], v[22:23]
	v_fma_f64 v[42:43], v[138:139], v[142:143], -v[48:49]
	v_mul_f64 v[48:49], v[20:21], v[108:109]
	v_fma_f64 v[36:37], v[94:95], v[242:243], -v[2:3]
	v_mul_f64 v[2:3], v[96:97], v[156:157]
	v_fma_f64 v[40:41], v[66:67], v[238:239], -v[40:41]
	v_fma_f64 v[66:67], v[38:39], v[102:103], v[18:19]
	v_fma_f64 v[38:39], v[62:63], v[102:103], -v[32:33]
	v_mul_f64 v[18:19], v[34:35], v[156:157]
	v_add_f64 v[62:63], v[221:222], v[218:219]
	v_fma_f64 v[20:21], v[146:147], v[106:107], -v[48:49]
	buffer_load_dword v48, off, s[40:43], 0 offset:32 ; 4-byte Folded Reload
	buffer_load_dword v49, off, s[40:43], 0 offset:36 ; 4-byte Folded Reload
	v_fma_f64 v[22:23], v[34:35], v[154:155], v[2:3]
	v_mul_f64 v[34:35], v[140:141], v[248:249]
	v_add_f64 v[32:33], v[12:13], v[221:222]
	v_fma_f64 v[58:59], v[54:55], s[4:5], v[50:51]
	v_fma_f64 v[2:3], v[96:97], v[154:155], -v[18:19]
	v_fma_f64 v[18:19], v[140:141], v[246:247], -v[52:53]
	v_add_f64 v[94:95], v[218:219], -v[84:85]
	v_fma_f64 v[12:13], v[62:63], -0.5, v[12:13]
	v_add_f64 v[62:63], v[254:255], v[148:149]
	v_fma_f64 v[30:31], v[30:31], v[246:247], v[34:35]
	v_mul_f64 v[34:35], v[180:181], v[160:161]
	v_add_f64 v[32:33], v[32:33], v[252:253]
	v_fma_f64 v[50:51], v[54:55], s[8:9], v[50:51]
	v_add_f64 v[96:97], v[84:85], -v[218:219]
	v_add_f64 v[102:103], v[80:81], v[152:153]
	v_add_f64 v[106:107], v[221:222], -v[218:219]
	v_fma_f64 v[104:105], v[62:63], -0.5, v[80:81]
	v_add_f64 v[108:109], v[148:149], -v[128:129]
	v_add_f64 v[138:139], v[14:15], v[136:137]
	v_add_f64 v[32:33], v[32:33], v[84:85]
	v_fma_f64 v[50:51], v[60:61], s[14:15], v[50:51]
	v_add_f64 v[84:85], v[252:253], -v[84:85]
	v_add_f64 v[140:141], v[126:127], -v[122:123]
	;; [unrolled: 1-line block ×5, first 2 shown]
	v_add_f64 v[156:157], v[10:11], v[178:179]
	v_add_f64 v[32:33], v[32:33], v[218:219]
	s_waitcnt lgkmcnt(0)
	; wave barrier
	s_waitcnt vmcnt(0)
	v_mul_f64 v[52:53], v[48:49], v[160:161]
	v_fma_f64 v[48:49], v[48:49], v[158:159], v[34:35]
	v_add_f64 v[160:161], v[172:173], -v[178:179]
	v_fma_f64 v[34:35], v[180:181], v[158:159], -v[52:53]
	v_fma_f64 v[52:53], v[60:61], s[6:7], v[58:59]
	v_add_f64 v[58:59], v[64:65], v[94:95]
	v_fma_f64 v[64:65], v[60:61], s[8:9], v[12:13]
	v_add_f64 v[94:95], v[252:253], -v[221:222]
	v_fma_f64 v[12:13], v[60:61], s[4:5], v[12:13]
	v_add_f64 v[158:159], v[112:113], -v[98:99]
	v_fma_f64 v[60:61], v[58:59], s[16:17], v[52:53]
	v_fma_f64 v[62:63], v[54:55], s[6:7], v[64:65]
	v_add_f64 v[64:65], v[94:95], v[96:97]
	v_fma_f64 v[12:13], v[54:55], s[14:15], v[12:13]
	v_add_f64 v[54:55], v[102:103], v[254:255]
	v_add_f64 v[94:95], v[152:153], v[128:129]
	v_fma_f64 v[96:97], v[106:107], s[8:9], v[104:105]
	v_fma_f64 v[58:59], v[58:59], s[16:17], v[50:51]
	;; [unrolled: 1-line block ×4, first 2 shown]
	v_add_f64 v[12:13], v[54:55], v[148:149]
	v_fma_f64 v[50:51], v[94:95], -0.5, v[80:81]
	v_fma_f64 v[52:53], v[84:85], s[14:15], v[96:97]
	v_add_f64 v[54:55], v[152:153], -v[254:255]
	v_add_f64 v[80:81], v[114:115], v[168:169]
	v_add_f64 v[94:95], v[128:129], -v[148:149]
	v_fma_f64 v[96:97], v[106:107], s[4:5], v[104:105]
	v_add_f64 v[104:105], v[254:255], -v[152:153]
	v_add_f64 v[12:13], v[12:13], v[128:129]
	v_fma_f64 v[102:103], v[84:85], s[4:5], v[50:51]
	v_fma_f64 v[50:51], v[84:85], s[8:9], v[50:51]
	v_add_f64 v[128:129], v[114:115], -v[136:137]
	v_fma_f64 v[80:81], v[80:81], -0.5, v[14:15]
	v_add_f64 v[54:55], v[54:55], v[94:95]
	v_fma_f64 v[84:85], v[84:85], s[6:7], v[96:97]
	v_add_f64 v[96:97], v[104:105], v[108:109]
	v_add_f64 v[104:105], v[136:137], v[250:251]
	v_fma_f64 v[94:95], v[106:107], s[14:15], v[102:103]
	v_fma_f64 v[102:103], v[106:107], s[6:7], v[50:51]
	v_add_f64 v[106:107], v[138:139], v[114:115]
	v_fma_f64 v[108:109], v[140:141], s[4:5], v[80:81]
	v_add_f64 v[138:139], v[120:121], -v[150:151]
	v_fma_f64 v[50:51], v[54:55], s[16:17], v[84:85]
	v_fma_f64 v[52:53], v[54:55], s[16:17], v[52:53]
	v_fma_f64 v[84:85], v[104:105], -0.5, v[14:15]
	v_fma_f64 v[54:55], v[96:97], s[16:17], v[94:95]
	v_fma_f64 v[14:15], v[96:97], s[16:17], v[102:103]
	v_add_f64 v[94:95], v[106:107], v[168:169]
	v_add_f64 v[102:103], v[136:137], -v[114:115]
	v_fma_f64 v[96:97], v[138:139], s[6:7], v[108:109]
	v_add_f64 v[106:107], v[250:251], -v[168:169]
	v_fma_f64 v[80:81], v[140:141], s[8:9], v[80:81]
	v_fma_f64 v[108:109], v[138:139], s[8:9], v[84:85]
	;; [unrolled: 1-line block ×3, first 2 shown]
	v_add_f64 v[104:105], v[120:121], v[150:151]
	v_add_f64 v[136:137], v[136:137], -v[250:251]
	v_add_f64 v[128:129], v[128:129], v[142:143]
	v_add_f64 v[142:143], v[144:145], v[120:121]
	;; [unrolled: 1-line block ×3, first 2 shown]
	v_fma_f64 v[106:107], v[138:139], s[14:15], v[80:81]
	v_fma_f64 v[108:109], v[140:141], s[6:7], v[108:109]
	;; [unrolled: 1-line block ×3, first 2 shown]
	v_add_f64 v[140:141], v[126:127], v[122:123]
	v_fma_f64 v[104:105], v[104:105], -0.5, v[82:83]
	v_add_f64 v[114:115], v[114:115], -v[168:169]
	v_add_f64 v[80:81], v[94:95], v[250:251]
	v_fma_f64 v[94:95], v[102:103], s[16:17], v[96:97]
	v_fma_f64 v[84:85], v[102:103], s[16:17], v[106:107]
	;; [unrolled: 1-line block ×3, first 2 shown]
	v_add_f64 v[106:107], v[142:143], v[150:151]
	v_fma_f64 v[102:103], v[140:141], -0.5, v[82:83]
	v_fma_f64 v[144:145], v[136:137], s[8:9], v[104:105]
	v_fma_f64 v[82:83], v[128:129], s[16:17], v[138:139]
	v_add_f64 v[128:129], v[126:127], -v[120:121]
	v_add_f64 v[138:139], v[162:163], v[176:177]
	v_fma_f64 v[104:105], v[136:137], s[4:5], v[104:105]
	v_add_f64 v[120:121], v[120:121], -v[126:127]
	v_add_f64 v[126:127], v[150:151], -v[122:123]
	v_fma_f64 v[142:143], v[114:115], s[4:5], v[102:103]
	v_fma_f64 v[102:103], v[114:115], s[8:9], v[102:103]
	;; [unrolled: 1-line block ×3, first 2 shown]
	v_add_f64 v[140:141], v[122:123], -v[150:151]
	v_add_f64 v[144:145], v[8:9], v[232:233]
	v_fma_f64 v[138:139], v[138:139], -0.5, v[8:9]
	v_fma_f64 v[104:105], v[114:115], s[6:7], v[104:105]
	v_add_f64 v[120:121], v[120:121], v[126:127]
	v_fma_f64 v[114:115], v[136:137], s[14:15], v[142:143]
	v_fma_f64 v[126:127], v[136:137], s[6:7], v[102:103]
	v_add_f64 v[136:137], v[232:233], v[174:175]
	v_add_f64 v[128:129], v[128:129], v[140:141]
	;; [unrolled: 1-line block ×3, first 2 shown]
	v_fma_f64 v[142:143], v[146:147], s[4:5], v[138:139]
	v_add_f64 v[144:145], v[166:167], -v[164:165]
	v_add_f64 v[102:103], v[106:107], v[122:123]
	v_fma_f64 v[138:139], v[146:147], s[8:9], v[138:139]
	v_add_f64 v[148:149], v[176:177], -v[174:175]
	v_fma_f64 v[8:9], v[136:137], -0.5, v[8:9]
	v_fma_f64 v[106:107], v[128:129], s[16:17], v[108:109]
	v_fma_f64 v[104:105], v[128:129], s[16:17], v[104:105]
	;; [unrolled: 1-line block ×4, first 2 shown]
	v_add_f64 v[120:121], v[140:141], v[176:177]
	v_fma_f64 v[122:123], v[144:145], s[6:7], v[142:143]
	v_add_f64 v[126:127], v[232:233], -v[162:163]
	v_add_f64 v[128:129], v[166:167], v[164:165]
	v_add_f64 v[136:137], v[174:175], -v[176:177]
	v_fma_f64 v[140:141], v[144:145], s[8:9], v[8:9]
	v_add_f64 v[142:143], v[162:163], -v[232:233]
	v_add_f64 v[150:151], v[68:69], v[110:111]
	v_fma_f64 v[8:9], v[144:145], s[4:5], v[8:9]
	v_add_f64 v[152:153], v[232:233], -v[174:175]
	v_add_f64 v[168:169], v[4:5], v[92:93]
	v_fma_f64 v[128:129], v[128:129], -0.5, v[68:69]
	v_add_f64 v[126:127], v[126:127], v[136:137]
	v_fma_f64 v[136:137], v[144:145], s[14:15], v[138:139]
	v_fma_f64 v[138:139], v[146:147], s[6:7], v[140:141]
	v_add_f64 v[140:141], v[142:143], v[148:149]
	v_add_f64 v[142:143], v[110:111], v[170:171]
	;; [unrolled: 1-line block ×3, first 2 shown]
	v_fma_f64 v[8:9], v[146:147], s[14:15], v[8:9]
	v_fma_f64 v[146:147], v[152:153], s[8:9], v[128:129]
	v_add_f64 v[148:149], v[162:163], -v[176:177]
	v_fma_f64 v[122:123], v[126:127], s[16:17], v[122:123]
	v_fma_f64 v[126:127], v[126:127], s[16:17], v[136:137]
	;; [unrolled: 1-line block ×3, first 2 shown]
	v_fma_f64 v[68:69], v[142:143], -0.5, v[68:69]
	v_add_f64 v[138:139], v[144:145], v[164:165]
	v_add_f64 v[144:145], v[172:173], v[182:183]
	v_fma_f64 v[128:129], v[152:153], s[4:5], v[128:129]
	v_fma_f64 v[8:9], v[140:141], s[16:17], v[8:9]
	;; [unrolled: 1-line block ×3, first 2 shown]
	v_add_f64 v[142:143], v[110:111], -v[166:167]
	v_add_f64 v[146:147], v[170:171], -v[164:165]
	v_fma_f64 v[150:151], v[148:149], s[4:5], v[68:69]
	v_add_f64 v[110:111], v[166:167], -v[110:111]
	v_fma_f64 v[68:69], v[148:149], s[8:9], v[68:69]
	v_fma_f64 v[144:145], v[144:145], -0.5, v[10:11]
	v_fma_f64 v[128:129], v[148:149], s[6:7], v[128:129]
	v_add_f64 v[148:149], v[178:179], v[186:187]
	v_add_f64 v[162:163], v[182:183], -v[186:187]
	v_add_f64 v[142:143], v[142:143], v[146:147]
	v_fma_f64 v[146:147], v[152:153], s[14:15], v[150:151]
	v_add_f64 v[110:111], v[110:111], v[154:155]
	v_fma_f64 v[68:69], v[152:153], s[6:7], v[68:69]
	;; [unrolled: 2-line block ×3, first 2 shown]
	v_add_f64 v[154:155], v[100:101], -v[184:185]
	v_fma_f64 v[10:11], v[148:149], -0.5, v[10:11]
	v_fma_f64 v[140:141], v[142:143], s[16:17], v[140:141]
	v_fma_f64 v[128:129], v[142:143], s[16:17], v[128:129]
	;; [unrolled: 1-line block ×4, first 2 shown]
	v_add_f64 v[68:69], v[150:151], v[182:183]
	v_add_f64 v[148:149], v[178:179], -v[172:173]
	v_fma_f64 v[146:147], v[154:155], s[6:7], v[152:153]
	v_add_f64 v[150:151], v[100:101], v[184:185]
	v_add_f64 v[152:153], v[186:187], -v[182:183]
	v_fma_f64 v[144:145], v[158:159], s[8:9], v[144:145]
	v_fma_f64 v[156:157], v[154:155], s[8:9], v[10:11]
	;; [unrolled: 1-line block ×3, first 2 shown]
	v_add_f64 v[164:165], v[70:71], v[112:113]
	v_add_f64 v[166:167], v[178:179], -v[186:187]
	v_add_f64 v[138:139], v[138:139], v[170:171]
	v_fma_f64 v[150:151], v[150:151], -0.5, v[70:71]
	v_add_f64 v[148:149], v[148:149], v[152:153]
	v_fma_f64 v[144:145], v[154:155], s[14:15], v[144:145]
	v_fma_f64 v[152:153], v[158:159], s[6:7], v[156:157]
	v_add_f64 v[154:155], v[160:161], v[162:163]
	v_fma_f64 v[10:11], v[158:159], s[14:15], v[10:11]
	v_add_f64 v[156:157], v[112:113], v[98:99]
	v_add_f64 v[158:159], v[164:165], v[100:101]
	v_fma_f64 v[160:161], v[166:167], s[8:9], v[150:151]
	v_add_f64 v[162:163], v[172:173], -v[182:183]
	v_fma_f64 v[146:147], v[148:149], s[16:17], v[146:147]
	v_fma_f64 v[144:145], v[148:149], s[16:17], v[144:145]
	;; [unrolled: 1-line block ×4, first 2 shown]
	v_fma_f64 v[70:71], v[156:157], -0.5, v[70:71]
	v_add_f64 v[152:153], v[158:159], v[184:185]
	v_add_f64 v[158:159], v[86:87], v[88:89]
	v_fma_f64 v[10:11], v[154:155], s[16:17], v[10:11]
	v_fma_f64 v[154:155], v[162:163], s[14:15], v[160:161]
	v_add_f64 v[156:157], v[112:113], -v[100:101]
	v_add_f64 v[160:161], v[98:99], -v[184:185]
	;; [unrolled: 1-line block ×3, first 2 shown]
	v_fma_f64 v[164:165], v[162:163], s[4:5], v[70:71]
	v_add_f64 v[112:113], v[184:185], -v[98:99]
	v_fma_f64 v[70:71], v[162:163], s[8:9], v[70:71]
	v_fma_f64 v[158:159], v[158:159], -0.5, v[4:5]
	v_add_f64 v[170:171], v[72:73], -v[78:79]
	v_fma_f64 v[150:151], v[162:163], s[6:7], v[150:151]
	v_add_f64 v[162:163], v[92:93], v[90:91]
	v_add_f64 v[156:157], v[156:157], v[160:161]
	v_fma_f64 v[160:161], v[166:167], s[14:15], v[164:165]
	v_add_f64 v[100:101], v[100:101], v[112:113]
	v_fma_f64 v[70:71], v[166:167], s[6:7], v[70:71]
	;; [unrolled: 2-line block ×3, first 2 shown]
	v_add_f64 v[166:167], v[74:75], -v[76:77]
	v_fma_f64 v[4:5], v[162:163], -0.5, v[4:5]
	v_add_f64 v[120:121], v[120:121], v[174:175]
	v_add_f64 v[152:153], v[152:153], v[98:99]
	v_fma_f64 v[154:155], v[156:157], s[16:17], v[154:155]
	v_fma_f64 v[150:151], v[156:157], s[16:17], v[150:151]
	;; [unrolled: 1-line block ×4, first 2 shown]
	v_add_f64 v[98:99], v[112:113], v[88:89]
	v_fma_f64 v[100:101], v[166:167], s[6:7], v[164:165]
	v_add_f64 v[112:113], v[92:93], -v[86:87]
	v_add_f64 v[160:161], v[24:25], v[72:73]
	v_add_f64 v[162:163], v[74:75], v[76:77]
	v_add_f64 v[164:165], v[90:91], -v[88:89]
	v_fma_f64 v[158:159], v[170:171], s[8:9], v[158:159]
	v_fma_f64 v[168:169], v[166:167], s[8:9], v[4:5]
	v_add_f64 v[172:173], v[86:87], -v[92:93]
	v_add_f64 v[174:175], v[88:89], -v[90:91]
	v_fma_f64 v[4:5], v[166:167], s[4:5], v[4:5]
	v_add_f64 v[160:161], v[160:161], v[74:75]
	v_fma_f64 v[162:163], v[162:163], -0.5, v[24:25]
	v_add_f64 v[92:93], v[92:93], -v[90:91]
	v_add_f64 v[112:113], v[112:113], v[164:165]
	v_fma_f64 v[158:159], v[166:167], s[14:15], v[158:159]
	v_fma_f64 v[164:165], v[170:171], s[6:7], v[168:169]
	v_add_f64 v[166:167], v[172:173], v[174:175]
	v_fma_f64 v[4:5], v[170:171], s[14:15], v[4:5]
	v_add_f64 v[168:169], v[72:73], v[78:79]
	v_add_f64 v[160:161], v[160:161], v[76:77]
	v_fma_f64 v[170:171], v[92:93], s[8:9], v[162:163]
	v_add_f64 v[86:87], v[86:87], -v[88:89]
	v_add_f64 v[88:89], v[98:99], v[90:91]
	v_fma_f64 v[90:91], v[112:113], s[16:17], v[100:101]
	v_fma_f64 v[100:101], v[166:167], s[16:17], v[164:165]
	;; [unrolled: 1-line block ×3, first 2 shown]
	v_fma_f64 v[24:25], v[168:169], -0.5, v[24:25]
	v_add_f64 v[166:167], v[6:7], v[56:57]
	v_fma_f64 v[98:99], v[112:113], s[16:17], v[158:159]
	v_add_f64 v[112:113], v[160:161], v[78:79]
	v_fma_f64 v[158:159], v[86:87], s[14:15], v[170:171]
	v_add_f64 v[160:161], v[72:73], -v[74:75]
	v_add_f64 v[164:165], v[78:79], -v[76:77]
	v_fma_f64 v[162:163], v[92:93], s[4:5], v[162:163]
	v_add_f64 v[168:169], v[44:45], v[46:47]
	v_fma_f64 v[170:171], v[86:87], s[4:5], v[24:25]
	v_add_f64 v[72:73], v[74:75], -v[72:73]
	v_add_f64 v[74:75], v[76:77], -v[78:79]
	v_fma_f64 v[24:25], v[86:87], s[8:9], v[24:25]
	v_add_f64 v[78:79], v[166:167], v[44:45]
	v_add_f64 v[76:77], v[160:161], v[164:165]
	v_fma_f64 v[86:87], v[86:87], s[6:7], v[162:163]
	v_fma_f64 v[160:161], v[168:169], -0.5, v[6:7]
	v_add_f64 v[162:163], v[36:37], -v[38:39]
	v_fma_f64 v[164:165], v[92:93], s[14:15], v[170:171]
	v_add_f64 v[72:73], v[72:73], v[74:75]
	v_fma_f64 v[24:25], v[92:93], s[6:7], v[24:25]
	v_add_f64 v[74:75], v[56:57], v[66:67]
	v_add_f64 v[78:79], v[78:79], v[46:47]
	v_fma_f64 v[158:159], v[76:77], s[16:17], v[158:159]
	v_fma_f64 v[76:77], v[76:77], s[16:17], v[86:87]
	;; [unrolled: 1-line block ×3, first 2 shown]
	v_add_f64 v[92:93], v[40:41], -v[42:43]
	v_fma_f64 v[164:165], v[72:73], s[16:17], v[164:165]
	v_fma_f64 v[72:73], v[72:73], s[16:17], v[24:25]
	v_fma_f64 v[6:7], v[74:75], -0.5, v[6:7]
	v_add_f64 v[24:25], v[78:79], v[66:67]
	v_add_f64 v[74:75], v[56:57], -v[44:45]
	v_add_f64 v[78:79], v[66:67], -v[46:47]
	v_fma_f64 v[160:161], v[162:163], s[8:9], v[160:161]
	v_add_f64 v[166:167], v[26:27], v[36:37]
	v_fma_f64 v[86:87], v[92:93], s[6:7], v[86:87]
	v_add_f64 v[168:169], v[40:41], v[42:43]
	v_fma_f64 v[170:171], v[92:93], s[8:9], v[6:7]
	v_add_f64 v[172:173], v[44:45], -v[56:57]
	v_add_f64 v[174:175], v[46:47], -v[66:67]
	v_add_f64 v[74:75], v[74:75], v[78:79]
	v_fma_f64 v[78:79], v[92:93], s[14:15], v[160:161]
	v_fma_f64 v[6:7], v[92:93], s[4:5], v[6:7]
	v_add_f64 v[92:93], v[166:167], v[40:41]
	v_fma_f64 v[160:161], v[168:169], -0.5, v[26:27]
	v_add_f64 v[56:57], v[56:57], -v[66:67]
	v_fma_f64 v[66:67], v[162:163], s[6:7], v[170:171]
	v_add_f64 v[166:167], v[172:173], v[174:175]
	v_fma_f64 v[86:87], v[74:75], s[16:17], v[86:87]
	v_fma_f64 v[74:75], v[74:75], s[16:17], v[78:79]
	;; [unrolled: 1-line block ×3, first 2 shown]
	v_add_f64 v[78:79], v[92:93], v[42:43]
	v_add_f64 v[92:93], v[36:37], v[38:39]
	v_fma_f64 v[162:163], v[56:57], s[8:9], v[160:161]
	v_add_f64 v[44:45], v[44:45], -v[46:47]
	v_fma_f64 v[46:47], v[166:167], s[16:17], v[66:67]
	v_add_f64 v[66:67], v[28:29], v[30:31]
	v_add_f64 v[168:169], v[36:37], -v[40:41]
	v_add_f64 v[170:171], v[38:39], -v[42:43]
	v_fma_f64 v[6:7], v[166:167], s[16:17], v[6:7]
	v_fma_f64 v[26:27], v[92:93], -0.5, v[26:27]
	v_add_f64 v[166:167], v[78:79], v[38:39]
	v_fma_f64 v[78:79], v[44:45], s[14:15], v[162:163]
	v_add_f64 v[92:93], v[0:1], v[22:23]
	v_fma_f64 v[66:67], v[66:67], -0.5, v[0:1]
	v_add_f64 v[162:163], v[2:3], -v[34:35]
	v_add_f64 v[168:169], v[168:169], v[170:171]
	v_fma_f64 v[160:161], v[56:57], s[4:5], v[160:161]
	v_fma_f64 v[170:171], v[44:45], s[4:5], v[26:27]
	v_add_f64 v[36:37], v[40:41], -v[36:37]
	v_add_f64 v[38:39], v[42:43], -v[38:39]
	v_fma_f64 v[26:27], v[44:45], s[8:9], v[26:27]
	v_add_f64 v[40:41], v[92:93], v[28:29]
	v_fma_f64 v[42:43], v[162:163], s[4:5], v[66:67]
	v_add_f64 v[92:93], v[20:21], -v[18:19]
	v_add_f64 v[172:173], v[22:23], -v[28:29]
	;; [unrolled: 1-line block ×3, first 2 shown]
	v_fma_f64 v[44:45], v[44:45], s[6:7], v[160:161]
	v_add_f64 v[160:161], v[22:23], v[48:49]
	v_fma_f64 v[170:171], v[56:57], s[14:15], v[170:171]
	v_add_f64 v[36:37], v[36:37], v[38:39]
	;; [unrolled: 2-line block ×4, first 2 shown]
	v_fma_f64 v[56:57], v[168:169], s[16:17], v[78:79]
	v_fma_f64 v[0:1], v[160:161], -0.5, v[0:1]
	v_fma_f64 v[160:161], v[168:169], s[16:17], v[44:45]
	v_fma_f64 v[168:169], v[36:37], s[16:17], v[170:171]
	;; [unrolled: 1-line block ×3, first 2 shown]
	v_add_f64 v[36:37], v[20:21], v[18:19]
	v_add_f64 v[78:79], v[2:3], v[34:35]
	;; [unrolled: 1-line block ×3, first 2 shown]
	v_fma_f64 v[38:39], v[42:43], s[16:17], v[40:41]
	v_fma_f64 v[40:41], v[162:163], s[8:9], v[66:67]
	v_add_f64 v[66:67], v[28:29], -v[22:23]
	v_add_f64 v[172:173], v[30:31], -v[48:49]
	v_add_f64 v[174:175], v[16:17], v[2:3]
	v_fma_f64 v[36:37], v[36:37], -0.5, v[16:17]
	v_add_f64 v[22:23], v[22:23], -v[48:49]
	v_add_f64 v[28:29], v[28:29], -v[30:31]
	v_fma_f64 v[16:17], v[78:79], -0.5, v[16:17]
	v_add_f64 v[78:79], v[2:3], -v[20:21]
	v_add_f64 v[2:3], v[20:21], -v[2:3]
	v_add_f64 v[30:31], v[66:67], v[172:173]
	v_add_f64 v[48:49], v[174:175], v[20:21]
	v_add_f64 v[20:21], v[18:19], -v[34:35]
	v_fma_f64 v[66:67], v[22:23], s[8:9], v[36:37]
	v_fma_f64 v[36:37], v[22:23], s[4:5], v[36:37]
	;; [unrolled: 1-line block ×7, first 2 shown]
	v_add_f64 v[92:93], v[34:35], -v[18:19]
	v_add_f64 v[18:19], v[48:49], v[18:19]
	v_fma_f64 v[48:49], v[28:29], s[14:15], v[66:67]
	v_fma_f64 v[28:29], v[28:29], s[6:7], v[36:37]
	;; [unrolled: 1-line block ×3, first 2 shown]
	v_add_f64 v[2:3], v[2:3], v[20:21]
	v_fma_f64 v[16:17], v[22:23], s[6:7], v[16:17]
	ds_write2_b64 v124, v[32:33], v[60:61] offset1:77
	ds_write2_b64 v124, v[62:63], v[64:65] offset0:154 offset1:231
	ds_write_b64 v124, v[58:59] offset:2464
	v_add_f64 v[68:69], v[68:69], v[186:187]
	v_fma_f64 v[44:45], v[162:163], s[6:7], v[44:45]
	v_fma_f64 v[0:1], v[162:163], s[14:15], v[0:1]
	v_fma_f64 v[20:21], v[42:43], s[16:17], v[40:41]
	v_add_f64 v[162:163], v[18:19], v[34:35]
	v_fma_f64 v[174:175], v[2:3], s[16:17], v[36:37]
	v_fma_f64 v[176:177], v[2:3], s[16:17], v[16:17]
	buffer_load_dword v3, off, s[40:43], 0  ; 4-byte Folded Reload
	v_mov_b32_e32 v2, 0xc08
	v_cndmask_b32_e64 v2, 0, v2, s[0:1]
	v_fma_f64 v[22:23], v[30:31], s[16:17], v[44:45]
	v_fma_f64 v[0:1], v[30:31], s[16:17], v[0:1]
	v_add_f64 v[66:67], v[78:79], v[92:93]
	v_fma_f64 v[172:173], v[66:67], s[16:17], v[48:49]
	v_fma_f64 v[28:29], v[66:67], s[16:17], v[28:29]
	s_waitcnt vmcnt(0)
	v_lshlrev_b32_e32 v3, 3, v3
	v_add3_u32 v178, 0, v2, v3
	ds_write2_b64 v178, v[80:81], v[94:95] offset1:77
	ds_write2_b64 v178, v[96:97], v[82:83] offset0:154 offset1:231
	ds_write_b64 v178, v[84:85] offset:2464
	buffer_load_dword v2, off, s[40:43], 0 offset:8 ; 4-byte Folded Reload
	v_mov_b32_e32 v3, 3
	v_lshlrev_b32_sdwa v3, v3, v131 dst_sel:DWORD dst_unused:UNUSED_PAD src0_sel:DWORD src1_sel:BYTE_0
	s_waitcnt vmcnt(0)
	v_mul_u32_u24_e32 v2, 0xc08, v2
	v_add3_u32 v131, 0, v2, v3
	ds_write2_b64 v131, v[120:121], v[122:123] offset1:77
	ds_write2_b64 v131, v[136:137], v[8:9] offset0:154 offset1:231
	ds_write_b64 v131, v[126:127] offset:2464
	buffer_load_dword v2, off, s[40:43], 0 offset:16 ; 4-byte Folded Reload
	s_waitcnt vmcnt(0)
	v_lshl_add_u32 v120, v2, 3, 0
	v_add_u32_e32 v121, 0x1800, v120
	ds_write2_b64 v121, v[68:69], v[146:147] offset0:2 offset1:79
	ds_write2_b64 v121, v[148:149], v[10:11] offset0:156 offset1:233
	ds_write_b64 v120, v[144:145] offset:8624
	buffer_load_dword v2, off, s[40:43], 0 offset:44 ; 4-byte Folded Reload
	buffer_load_dword v3, off, s[40:43], 0 offset:48 ; 4-byte Folded Reload
	s_waitcnt vmcnt(1)
	v_mul_u32_u24_e32 v2, 0xc08, v2
	s_waitcnt vmcnt(0)
	v_lshlrev_b32_e32 v3, 3, v3
	v_add3_u32 v122, 0, v2, v3
	ds_write2_b64 v122, v[88:89], v[90:91] offset1:77
	ds_write2_b64 v122, v[100:101], v[4:5] offset0:154 offset1:231
	ds_write_b64 v122, v[98:99] offset:2464
	buffer_load_dword v2, off, s[40:43], 0 offset:40 ; 4-byte Folded Reload
	buffer_load_dword v3, off, s[40:43], 0 offset:52 ; 4-byte Folded Reload
	s_waitcnt vmcnt(1)
	v_mul_u32_u24_e32 v2, 0xc08, v2
	s_waitcnt vmcnt(0)
	v_lshlrev_b32_e32 v3, 3, v3
	v_add3_u32 v88, 0, v2, v3
	ds_write2_b64 v88, v[24:25], v[86:87] offset1:77
	ds_write2_b64 v88, v[46:47], v[6:7] offset0:154 offset1:231
	ds_write_b64 v88, v[74:75] offset:2464
	v_lshl_add_u32 v6, v134, 3, 0
	v_add_u32_e32 v7, 0x3000, v6
	ds_write2_b64 v7, v[26:27], v[38:39] offset0:4 offset1:81
	ds_write2_b64 v7, v[22:23], v[0:1] offset0:158 offset1:235
	ds_write_b64 v6, v[20:21] offset:14784
	s_waitcnt lgkmcnt(0)
	; wave barrier
	s_waitcnt lgkmcnt(0)
	ds_read2_b64 v[16:19], v124 offset1:55
	ds_read2_b64 v[30:33], v135 offset0:74 offset1:129
	buffer_load_dword v0, off, s[40:43], 0 offset:56 ; 4-byte Folded Reload
	s_waitcnt vmcnt(0)
	ds_read2_b64 v[38:41], v0 offset0:2 offset1:57
	ds_read2_b64 v[42:45], v130 offset0:76 offset1:131
	;; [unrolled: 1-line block ×10, first 2 shown]
	buffer_load_dword v0, off, s[40:43], 0 offset:60 ; 4-byte Folded Reload
	s_waitcnt vmcnt(0)
	ds_read2_b64 v[82:85], v0 offset0:92 offset1:147
	ds_read2_b64 v[46:49], v133 offset0:94 offset1:149
	;; [unrolled: 1-line block ×5, first 2 shown]
	ds_read_b64 v[4:5], v124 offset:14960
	s_waitcnt lgkmcnt(0)
	; wave barrier
	s_waitcnt lgkmcnt(0)
	ds_write2_b64 v124, v[12:13], v[52:53] offset1:77
	ds_write2_b64 v124, v[54:55], v[14:15] offset0:154 offset1:231
	ds_write_b64 v124, v[50:51] offset:2464
	ds_write2_b64 v178, v[102:103], v[106:107] offset1:77
	ds_write2_b64 v178, v[108:109], v[114:115] offset0:154 offset1:231
	ds_write_b64 v178, v[104:105] offset:2464
	;; [unrolled: 3-line block ×3, first 2 shown]
	ds_write2_b64 v121, v[152:153], v[154:155] offset0:2 offset1:79
	ds_write2_b64 v121, v[156:157], v[70:71] offset0:156 offset1:233
	ds_write_b64 v120, v[150:151] offset:8624
	ds_write2_b64 v122, v[112:113], v[158:159] offset1:77
	ds_write2_b64 v122, v[164:165], v[72:73] offset0:154 offset1:231
	ds_write_b64 v122, v[76:77] offset:2464
	ds_write2_b64 v88, v[166:167], v[56:57] offset1:77
	ds_write2_b64 v88, v[168:169], v[170:171] offset0:154 offset1:231
	ds_write_b64 v88, v[160:161] offset:2464
	ds_write2_b64 v7, v[162:163], v[172:173] offset0:4 offset1:81
	ds_write2_b64 v7, v[174:175], v[176:177] offset0:158 offset1:235
	ds_write_b64 v6, v[28:29] offset:14784
	s_waitcnt lgkmcnt(0)
	; wave barrier
	s_waitcnt lgkmcnt(0)
	s_and_saveexec_b64 s[0:1], vcc
	s_cbranch_execz .LBB0_23
; %bb.22:
	buffer_load_dword v6, off, s[40:43], 0 offset:84 ; 4-byte Folded Reload
	v_mov_b32_e32 v104, s13
	v_add_u32_e32 v105, 0x2000, v194
	v_add_u32_e32 v115, 0x1000, v194
	;; [unrolled: 1-line block ×4, first 2 shown]
	v_mul_lo_u32 v106, s3, v226
	v_mul_lo_u32 v107, s2, v227
	v_mad_u64_u32 v[126:127], s[0:1], s2, v226, 0
	s_movk_i32 s1, 0x17a0
	s_movk_i32 s0, 0x1000
	v_add3_u32 v127, v127, v107, v106
	v_add_u32_e32 v190, 0x1800, v194
	v_add_u32_e32 v192, 0x3000, v194
	s_movk_i32 s2, 0x3000
	s_waitcnt vmcnt(0)
	v_lshlrev_b32_e32 v124, 2, v6
	v_lshlrev_b64 v[6:7], 4, v[124:125]
	v_add_co_u32_e32 v12, vcc, s12, v6
	v_addc_co_u32_e32 v29, vcc, v104, v7, vcc
	v_add_co_u32_e32 v6, vcc, 0x17a0, v12
	v_addc_co_u32_e32 v7, vcc, 0, v29, vcc
	;; [unrolled: 2-line block ×3, first 2 shown]
	global_load_dwordx4 v[12:15], v[6:7], off offset:32
	global_load_dwordx4 v[20:23], v[6:7], off offset:16
	;; [unrolled: 1-line block ×4, first 2 shown]
	ds_read_b64 v[6:7], v194 offset:14960
	ds_read2_b64 v[70:73], v105 offset0:76 offset1:131
	ds_read2_b64 v[86:89], v115 offset0:148 offset1:203
	;; [unrolled: 1-line block ×4, first 2 shown]
	buffer_load_dword v28, off, s[40:43], 0 offset:80 ; 4-byte Folded Reload
	buffer_load_dword v102, off, s[40:43], 0 offset:76 ; 4-byte Folded Reload
	s_waitcnt vmcnt(3)
	v_mul_f64 v[122:123], v[2:3], v[52:53]
	s_waitcnt vmcnt(2)
	v_mul_f64 v[152:153], v[4:5], v[56:57]
	s_waitcnt lgkmcnt(2)
	v_mul_f64 v[52:53], v[88:89], v[52:53]
	v_mul_f64 v[56:57], v[6:7], v[56:57]
	s_waitcnt vmcnt(1)
	v_lshlrev_b32_e32 v124, 2, v28
	v_lshlrev_b64 v[28:29], 4, v[124:125]
	s_waitcnt vmcnt(0)
	v_lshlrev_b32_e32 v124, 2, v102
	v_add_co_u32_e32 v106, vcc, s12, v28
	v_addc_co_u32_e32 v107, vcc, v104, v29, vcc
	v_add_co_u32_e32 v28, vcc, s1, v106
	v_addc_co_u32_e32 v29, vcc, 0, v107, vcc
	v_add_co_u32_e32 v106, vcc, s0, v106
	v_addc_co_u32_e32 v107, vcc, 0, v107, vcc
	v_lshlrev_b64 v[102:103], 4, v[124:125]
	global_load_dwordx4 v[118:121], v[106:107], off offset:1952
	global_load_dwordx4 v[128:131], v[28:29], off offset:48
	global_load_dwordx4 v[132:135], v[28:29], off offset:32
	global_load_dwordx4 v[136:139], v[28:29], off offset:16
	v_add_co_u32_e32 v102, vcc, s12, v102
	v_addc_co_u32_e32 v103, vcc, v104, v103, vcc
	v_add_co_u32_e32 v28, vcc, s1, v102
	v_addc_co_u32_e32 v29, vcc, 0, v103, vcc
	;; [unrolled: 2-line block ×3, first 2 shown]
	global_load_dwordx4 v[140:143], v[102:103], off offset:1952
	global_load_dwordx4 v[144:147], v[28:29], off offset:48
	v_mul_f64 v[102:103], v[42:43], v[22:23]
	v_mul_f64 v[22:23], v[70:71], v[22:23]
	s_waitcnt lgkmcnt(1)
	v_mul_f64 v[106:107], v[111:112], v[14:15]
	v_mul_f64 v[14:15], v[10:11], v[14:15]
	v_fma_f64 v[6:7], v[54:55], v[6:7], -v[152:153]
	v_fma_f64 v[2:3], v[2:3], v[50:51], v[52:53]
	v_fma_f64 v[54:55], v[4:5], v[54:55], v[56:57]
	v_fma_f64 v[70:71], v[20:21], v[70:71], -v[102:103]
	v_fma_f64 v[20:21], v[42:43], v[20:21], v[22:23]
	v_fma_f64 v[42:43], v[10:11], v[12:13], v[106:107]
	v_fma_f64 v[10:11], v[12:13], v[111:112], -v[14:15]
	v_fma_f64 v[12:13], v[50:51], v[88:89], -v[122:123]
	global_load_dwordx4 v[111:114], v[28:29], off offset:32
	global_load_dwordx4 v[148:151], v[28:29], off offset:16
	v_add_f64 v[88:89], v[2:3], -v[54:55]
	v_add_f64 v[156:157], v[2:3], v[54:55]
	v_add_f64 v[152:153], v[20:21], -v[2:3]
	v_add_f64 v[4:5], v[20:21], -v[42:43]
	v_add_f64 v[14:15], v[70:71], v[10:11]
	v_add_f64 v[56:57], v[12:13], v[6:7]
	;; [unrolled: 1-line block ×3, first 2 shown]
	v_add_f64 v[50:51], v[70:71], -v[12:13]
	v_add_f64 v[52:53], v[10:11], -v[6:7]
	;; [unrolled: 1-line block ×4, first 2 shown]
	s_waitcnt lgkmcnt(0)
	v_add_f64 v[122:123], v[12:13], v[74:75]
	v_fma_f64 v[14:15], v[14:15], -0.5, v[74:75]
	v_fma_f64 v[56:57], v[56:57], -0.5, v[74:75]
	v_add_f64 v[28:29], v[70:71], -v[10:11]
	v_add_f64 v[154:155], v[42:43], -v[54:55]
	v_add_f64 v[12:13], v[12:13], -v[6:7]
	v_add_f64 v[158:159], v[2:3], -v[20:21]
	v_add_f64 v[2:3], v[30:31], v[2:3]
	v_fma_f64 v[22:23], v[22:23], -0.5, v[30:31]
	v_add_f64 v[50:51], v[50:51], v[52:53]
	v_add_f64 v[52:53], v[102:103], v[106:107]
	v_add_f64 v[70:71], v[70:71], v[122:123]
	v_fma_f64 v[102:103], v[88:89], s[4:5], v[14:15]
	v_fma_f64 v[106:107], v[4:5], s[8:9], v[56:57]
	v_fma_f64 v[30:31], v[156:157], -0.5, v[30:31]
	v_add_f64 v[74:75], v[152:153], v[154:155]
	v_add_f64 v[20:21], v[20:21], v[2:3]
	v_fma_f64 v[152:153], v[12:13], s[8:9], v[22:23]
	v_fma_f64 v[56:57], v[4:5], s[4:5], v[56:57]
	v_add_f64 v[2:3], v[10:11], v[70:71]
	v_fma_f64 v[10:11], v[4:5], s[6:7], v[102:103]
	v_fma_f64 v[70:71], v[88:89], s[6:7], v[106:107]
	;; [unrolled: 1-line block ×7, first 2 shown]
	v_add_f64 v[22:23], v[6:7], v[2:3]
	v_add_f64 v[160:161], v[54:55], -v[42:43]
	v_fma_f64 v[6:7], v[50:51], s[16:17], v[70:71]
	v_fma_f64 v[70:71], v[28:29], s[14:15], v[152:153]
	;; [unrolled: 1-line block ×3, first 2 shown]
	v_add_u32_e32 v28, 0x1c00, v194
	v_fma_f64 v[88:89], v[12:13], s[14:15], v[122:123]
	v_fma_f64 v[12:13], v[12:13], s[6:7], v[30:31]
	ds_read2_b64 v[28:31], v28 offset0:94 offset1:149
	v_fma_f64 v[4:5], v[4:5], s[14:15], v[14:15]
	v_fma_f64 v[2:3], v[52:53], s[16:17], v[10:11]
	v_fma_f64 v[10:11], v[50:51], s[16:17], v[56:57]
	s_waitcnt vmcnt(5)
	v_mul_f64 v[122:123], v[8:9], v[134:135]
	s_waitcnt vmcnt(4)
	v_mul_f64 v[106:107], v[48:49], v[138:139]
	s_waitcnt lgkmcnt(0)
	v_mul_f64 v[138:139], v[30:31], v[138:139]
	v_mul_f64 v[134:135], v[109:110], v[134:135]
	v_add_u32_e32 v50, 0x3400, v194
	v_fma_f64 v[14:15], v[52:53], s[16:17], v[4:5]
	ds_read2_b64 v[50:53], v50 offset0:96 offset1:151
	v_add_f64 v[56:57], v[158:159], v[160:161]
	v_fma_f64 v[109:110], v[132:133], v[109:110], -v[122:123]
	v_fma_f64 v[106:107], v[136:137], v[30:31], -v[106:107]
	v_fma_f64 v[122:123], v[48:49], v[136:137], v[138:139]
	v_fma_f64 v[4:5], v[74:75], s[16:17], v[88:89]
	v_add_f64 v[20:21], v[20:21], v[42:43]
	v_mul_f64 v[42:43], v[0:1], v[120:121]
	s_waitcnt vmcnt(2)
	v_mul_f64 v[136:137], v[24:25], v[146:147]
	v_mul_f64 v[88:89], v[26:27], v[130:131]
	;; [unrolled: 1-line block ×3, first 2 shown]
	v_fma_f64 v[138:139], v[8:9], v[132:133], v[134:135]
	v_add_u32_e32 v8, 0x400, v194
	v_add_f64 v[20:21], v[20:21], v[54:55]
	v_fma_f64 v[42:43], v[118:119], v[86:87], -v[42:43]
	s_waitcnt lgkmcnt(0)
	v_fma_f64 v[158:159], v[144:145], v[50:51], -v[136:137]
	v_mul_f64 v[50:51], v[50:51], v[146:147]
	v_fma_f64 v[152:153], v[128:129], v[52:53], -v[88:89]
	v_mul_f64 v[52:53], v[52:53], v[130:131]
	v_fma_f64 v[132:133], v[0:1], v[118:119], v[30:31]
	ds_read2_b64 v[86:89], v8 offset0:92 offset1:147
	v_add_f64 v[30:31], v[122:123], -v[138:139]
	v_fma_f64 v[8:9], v[74:75], s[16:17], v[12:13]
	v_fma_f64 v[0:1], v[56:57], s[16:17], v[70:71]
	;; [unrolled: 1-line block ×3, first 2 shown]
	buffer_load_dword v24, off, s[40:43], 0 offset:72 ; 4-byte Folded Reload
	v_add_f64 v[48:49], v[42:43], v[152:153]
	v_fma_f64 v[154:155], v[26:27], v[128:129], v[52:53]
	v_add_f64 v[26:27], v[106:107], v[109:110]
	v_fma_f64 v[12:13], v[56:57], s[16:17], v[102:103]
	v_add_f64 v[54:55], v[106:107], -v[42:43]
	s_waitcnt lgkmcnt(0)
	v_add_f64 v[56:57], v[42:43], v[88:89]
	v_add_f64 v[70:71], v[109:110], -v[152:153]
	v_add_f64 v[102:103], v[152:153], -v[109:110]
	v_fma_f64 v[48:49], v[48:49], -0.5, v[88:89]
	v_add_f64 v[52:53], v[132:133], -v[154:155]
	v_fma_f64 v[26:27], v[26:27], -0.5, v[88:89]
	v_add_f64 v[88:89], v[42:43], -v[106:107]
	v_add_f64 v[120:121], v[138:139], -v[154:155]
	v_add_f64 v[56:57], v[106:107], v[56:57]
	v_add_f64 v[54:55], v[54:55], v[70:71]
	v_add_f64 v[106:107], v[106:107], -v[109:110]
	v_fma_f64 v[74:75], v[30:31], s[8:9], v[48:49]
	v_fma_f64 v[48:49], v[30:31], s[4:5], v[48:49]
	;; [unrolled: 1-line block ×4, first 2 shown]
	ds_read2_b64 v[128:131], v162 offset0:40 offset1:95
	v_add_f64 v[56:57], v[109:110], v[56:57]
	v_mul_f64 v[109:110], v[80:81], v[142:143]
	v_add_f64 v[42:43], v[42:43], -v[152:153]
	v_fma_f64 v[70:71], v[52:53], s[6:7], v[74:75]
	v_fma_f64 v[48:49], v[52:53], s[14:15], v[48:49]
	v_add_f64 v[52:53], v[132:133], v[154:155]
	v_add_f64 v[74:75], v[88:89], v[102:103]
	v_fma_f64 v[88:89], v[30:31], s[6:7], v[118:119]
	v_fma_f64 v[102:103], v[30:31], s[14:15], v[26:27]
	v_add_f64 v[118:119], v[122:123], -v[132:133]
	v_add_f64 v[56:57], v[152:153], v[56:57]
	v_fma_f64 v[30:31], v[54:55], s[16:17], v[70:71]
	v_fma_f64 v[48:49], v[54:55], s[16:17], v[48:49]
	v_fma_f64 v[70:71], v[52:53], -0.5, v[84:85]
	s_waitcnt vmcnt(2) lgkmcnt(0)
	v_mul_f64 v[156:157], v[130:131], v[113:114]
	v_fma_f64 v[26:27], v[74:75], s[16:17], v[88:89]
	v_fma_f64 v[52:53], v[74:75], s[16:17], v[102:103]
	v_add_f64 v[74:75], v[122:123], v[138:139]
	v_add_f64 v[54:55], v[118:119], v[120:121]
	ds_read2_b64 v[118:121], v115 offset0:38 offset1:93
	v_add_f64 v[102:103], v[132:133], -v[122:123]
	v_fma_f64 v[88:89], v[106:107], s[4:5], v[70:71]
	v_fma_f64 v[70:71], v[106:107], s[8:9], v[70:71]
	v_mul_f64 v[113:114], v[92:93], v[113:114]
	s_waitcnt lgkmcnt(0)
	v_fma_f64 v[152:153], v[140:141], v[120:121], -v[109:110]
	v_fma_f64 v[74:75], v[74:75], -0.5, v[84:85]
	s_waitcnt vmcnt(1)
	v_mul_f64 v[109:110], v[28:29], v[150:151]
	v_add_f64 v[84:85], v[84:85], v[132:133]
	v_mul_f64 v[132:133], v[46:47], v[150:151]
	v_add_f64 v[134:135], v[154:155], -v[138:139]
	v_fma_f64 v[88:89], v[42:43], s[14:15], v[88:89]
	v_fma_f64 v[70:71], v[42:43], s[6:7], v[70:71]
	;; [unrolled: 1-line block ×5, first 2 shown]
	v_add_f64 v[46:47], v[152:153], v[158:159]
	v_mul_f64 v[92:93], v[120:121], v[142:143]
	v_fma_f64 v[42:43], v[42:43], s[4:5], v[74:75]
	v_fma_f64 v[142:143], v[148:149], v[28:29], -v[132:133]
	v_fma_f64 v[113:114], v[111:112], v[130:131], -v[113:114]
	v_add_f64 v[102:103], v[102:103], v[134:135]
	v_add_f64 v[74:75], v[122:123], v[84:85]
	v_add_f64 v[146:147], v[162:163], -v[164:165]
	v_fma_f64 v[84:85], v[46:47], -0.5, v[86:87]
	v_fma_f64 v[148:149], v[80:81], v[140:141], v[92:93]
	v_fma_f64 v[42:43], v[106:107], s[6:7], v[42:43]
	v_add_f64 v[80:81], v[142:143], -v[152:153]
	v_add_f64 v[92:93], v[142:143], v[113:114]
	v_fma_f64 v[46:47], v[54:55], s[16:17], v[70:71]
	v_add_f64 v[74:75], v[74:75], v[138:139]
	v_add_f64 v[156:157], v[166:167], -v[164:165]
	v_fma_f64 v[138:139], v[146:147], s[8:9], v[84:85]
	v_add_f64 v[140:141], v[148:149], -v[166:167]
	v_fma_f64 v[50:51], v[102:103], s[16:17], v[42:43]
	v_add_f64 v[168:169], v[82:83], v[148:149]
	v_fma_f64 v[42:43], v[92:93], -0.5, v[86:87]
	v_add_f64 v[92:93], v[152:153], -v[142:143]
	v_add_f64 v[86:87], v[152:153], v[86:87]
	s_waitcnt vmcnt(0)
	v_lshlrev_b32_e32 v124, 2, v24
	v_lshlrev_b64 v[24:25], 4, v[124:125]
	v_add_co_u32_e32 v28, vcc, s12, v24
	v_addc_co_u32_e32 v29, vcc, v104, v25, vcc
	v_add_co_u32_e32 v24, vcc, s0, v28
	v_addc_co_u32_e32 v25, vcc, 0, v29, vcc
	global_load_dwordx4 v[109:112], v[24:25], off offset:1952
	v_add_co_u32_e32 v24, vcc, s1, v28
	v_addc_co_u32_e32 v25, vcc, 0, v29, vcc
	global_load_dwordx4 v[120:123], v[24:25], off offset:48
	global_load_dwordx4 v[130:133], v[24:25], off offset:32
	;; [unrolled: 1-line block ×3, first 2 shown]
	v_fma_f64 v[24:25], v[106:107], s[14:15], v[160:161]
	v_add_f64 v[106:107], v[113:114], -v[158:159]
	v_fma_f64 v[28:29], v[54:55], s[16:17], v[88:89]
	v_add_f64 v[54:55], v[74:75], v[154:155]
	v_fma_f64 v[74:75], v[140:141], s[6:7], v[138:139]
	v_add_f64 v[88:89], v[148:149], v[166:167]
	v_add_f64 v[154:155], v[142:143], -v[113:114]
	v_add_f64 v[86:87], v[142:143], v[86:87]
	v_fma_f64 v[24:25], v[102:103], s[16:17], v[24:25]
	v_add_f64 v[70:71], v[80:81], v[106:107]
	v_fma_f64 v[80:81], v[146:147], s[4:5], v[84:85]
	v_add_f64 v[102:103], v[158:159], -v[113:114]
	v_fma_f64 v[106:107], v[140:141], s[4:5], v[42:43]
	v_fma_f64 v[42:43], v[140:141], s[8:9], v[42:43]
	v_add_f64 v[138:139], v[164:165], -v[166:167]
	v_fma_f64 v[84:85], v[70:71], s[16:17], v[74:75]
	v_fma_f64 v[74:75], v[140:141], s[14:15], v[80:81]
	v_fma_f64 v[80:81], v[88:89], -0.5, v[82:83]
	v_add_f64 v[92:93], v[92:93], v[102:103]
	v_fma_f64 v[102:103], v[146:147], s[6:7], v[106:107]
	v_fma_f64 v[42:43], v[146:147], s[14:15], v[42:43]
	v_add_f64 v[106:107], v[162:163], -v[148:149]
	v_add_f64 v[146:147], v[152:153], -v[158:159]
	v_fma_f64 v[88:89], v[70:71], s[16:17], v[74:75]
	v_fma_f64 v[140:141], v[154:155], s[4:5], v[80:81]
	;; [unrolled: 1-line block ×4, first 2 shown]
	buffer_load_dword v102, off, s[40:43], 0 offset:68 ; 4-byte Folded Reload
	v_add_f64 v[70:71], v[162:163], v[164:165]
	v_fma_f64 v[92:93], v[92:93], s[16:17], v[42:43]
	v_add_f64 v[42:43], v[113:114], v[86:87]
	v_add_f64 v[74:75], v[106:107], v[138:139]
	v_fma_f64 v[86:87], v[146:147], s[14:15], v[140:141]
	v_fma_f64 v[106:107], v[146:147], s[6:7], v[142:143]
	v_add_f64 v[113:114], v[148:149], -v[162:163]
	v_fma_f64 v[70:71], v[70:71], -0.5, v[82:83]
	v_fma_f64 v[82:83], v[74:75], s[16:17], v[86:87]
	v_fma_f64 v[86:87], v[74:75], s[16:17], v[106:107]
	v_add_f64 v[106:107], v[162:163], v[168:169]
	v_fma_f64 v[160:161], v[146:147], s[8:9], v[70:71]
	v_fma_f64 v[70:71], v[146:147], s[4:5], v[70:71]
	v_add_f64 v[106:107], v[106:107], v[164:165]
	v_fma_f64 v[74:75], v[154:155], s[14:15], v[160:161]
	v_fma_f64 v[70:71], v[154:155], s[6:7], v[70:71]
	s_waitcnt vmcnt(3)
	v_mul_f64 v[162:163], v[96:97], v[122:123]
	s_waitcnt vmcnt(2)
	v_mul_f64 v[170:171], v[90:91], v[132:133]
	;; [unrolled: 2-line block ×3, first 2 shown]
	v_mul_f64 v[132:133], v[128:129], v[132:133]
	v_fma_f64 v[176:177], v[90:91], v[130:131], v[132:133]
	s_waitcnt vmcnt(0)
	v_lshlrev_b32_e32 v124, 2, v102
	v_lshlrev_b64 v[102:103], 4, v[124:125]
	v_add_co_u32_e32 v115, vcc, s12, v102
	v_addc_co_u32_e32 v124, vcc, v104, v103, vcc
	v_add_co_u32_e32 v102, vcc, s0, v115
	v_addc_co_u32_e32 v103, vcc, 0, v124, vcc
	global_load_dwordx4 v[138:141], v[102:103], off offset:1952
	v_add_co_u32_e32 v102, vcc, s1, v115
	v_addc_co_u32_e32 v103, vcc, 0, v124, vcc
	global_load_dwordx4 v[142:145], v[102:103], off offset:48
	global_load_dwordx4 v[146:149], v[102:103], off offset:32
	;; [unrolled: 1-line block ×3, first 2 shown]
	v_add_f64 v[102:103], v[158:159], v[42:43]
	v_add_f64 v[42:43], v[113:114], v[156:157]
	v_mul_f64 v[113:114], v[78:79], v[111:112]
	ds_read2_b64 v[154:157], v190 offset0:112 offset1:167
	ds_read2_b64 v[158:161], v192 offset0:114 offset1:169
	v_mul_f64 v[111:112], v[118:119], v[111:112]
	v_fma_f64 v[90:91], v[42:43], s[16:17], v[70:71]
	v_fma_f64 v[172:173], v[109:110], v[118:119], -v[113:114]
	s_waitcnt lgkmcnt(1)
	v_mul_f64 v[113:114], v[156:157], v[136:137]
	s_waitcnt lgkmcnt(0)
	v_fma_f64 v[136:137], v[120:121], v[160:161], -v[162:163]
	v_fma_f64 v[156:157], v[134:135], v[156:157], -v[168:169]
	v_mul_f64 v[118:119], v[160:161], v[122:123]
	v_fma_f64 v[122:123], v[130:131], v[128:129], -v[170:171]
	ds_read2_b64 v[128:131], v194 offset0:110 offset1:165
	v_fma_f64 v[174:175], v[100:101], v[134:135], v[113:114]
	v_add_f64 v[100:101], v[172:173], v[136:137]
	v_fma_f64 v[112:113], v[78:79], v[109:110], v[111:112]
	v_fma_f64 v[118:119], v[96:97], v[120:121], v[118:119]
	v_add_f64 v[96:97], v[156:157], v[122:123]
	v_fma_f64 v[78:79], v[42:43], s[16:17], v[74:75]
	s_waitcnt lgkmcnt(0)
	v_add_f64 v[109:110], v[172:173], v[130:131]
	v_add_f64 v[74:75], v[156:157], -v[172:173]
	v_add_f64 v[42:43], v[174:175], -v[176:177]
	v_fma_f64 v[70:71], v[100:101], -0.5, v[130:131]
	v_add_f64 v[100:101], v[106:107], v[166:167]
	v_add_f64 v[106:107], v[112:113], -v[118:119]
	v_fma_f64 v[96:97], v[96:97], -0.5, v[130:131]
	v_add_f64 v[114:115], v[122:123], -v[136:137]
	v_add_f64 v[130:131], v[172:173], -v[156:157]
	v_add_f64 v[132:133], v[136:137], -v[122:123]
	v_add_f64 v[109:110], v[156:157], v[109:110]
	v_fma_f64 v[120:121], v[42:43], s[8:9], v[70:71]
	v_fma_f64 v[70:71], v[42:43], s[4:5], v[70:71]
	v_add_f64 v[160:161], v[174:175], -v[112:113]
	v_fma_f64 v[134:135], v[106:107], s[4:5], v[96:97]
	v_fma_f64 v[96:97], v[106:107], s[8:9], v[96:97]
	v_add_f64 v[74:75], v[74:75], v[114:115]
	v_add_f64 v[130:131], v[130:131], v[132:133]
	v_add_f64 v[162:163], v[176:177], -v[118:119]
	v_fma_f64 v[114:115], v[106:107], s[6:7], v[120:121]
	v_fma_f64 v[70:71], v[106:107], s[14:15], v[70:71]
	v_add_f64 v[120:121], v[112:113], v[118:119]
	v_fma_f64 v[132:133], v[42:43], s[6:7], v[134:135]
	v_add_f64 v[134:135], v[122:123], v[109:110]
	v_fma_f64 v[42:43], v[42:43], s[14:15], v[96:97]
	v_add_f64 v[122:123], v[156:157], -v[122:123]
	v_add_f64 v[164:165], v[118:119], -v[176:177]
	v_fma_f64 v[96:97], v[74:75], s[16:17], v[114:115]
	v_fma_f64 v[106:107], v[74:75], s[16:17], v[70:71]
	v_add_f64 v[74:75], v[172:173], -v[136:137]
	v_fma_f64 v[120:121], v[120:121], -0.5, v[68:69]
	v_add_f64 v[114:115], v[136:137], v[134:135]
	ds_read2_b64 v[134:137], v105 offset0:186 offset1:241
	buffer_load_dword v105, off, s[40:43], 0 offset:64 ; 4-byte Folded Reload
	v_fma_f64 v[110:111], v[130:131], s[16:17], v[42:43]
	v_add_f64 v[42:43], v[160:161], v[162:163]
	v_fma_f64 v[70:71], v[130:131], s[16:17], v[132:133]
	ds_read2_b64 v[130:133], v108 offset0:184 offset1:239
	v_fma_f64 v[156:157], v[122:123], s[4:5], v[120:121]
	v_fma_f64 v[120:121], v[122:123], s[8:9], v[120:121]
	v_add_f64 v[162:163], v[112:113], -v[174:175]
	v_add_f64 v[166:167], v[174:175], v[176:177]
	v_fma_f64 v[172:173], v[74:75], s[14:15], v[156:157]
	s_waitcnt vmcnt(4)
	v_mul_f64 v[160:161], v[60:61], v[140:141]
	v_fma_f64 v[182:183], v[166:167], -0.5, v[68:69]
	v_add_f64 v[68:69], v[68:69], v[112:113]
	s_waitcnt vmcnt(3)
	v_mul_f64 v[108:109], v[94:95], v[144:145]
	s_waitcnt vmcnt(1)
	v_mul_f64 v[156:157], v[154:155], v[152:153]
	v_mul_f64 v[152:153], v[98:99], v[152:153]
	s_waitcnt lgkmcnt(0)
	v_fma_f64 v[178:179], v[138:139], v[132:133], -v[160:161]
	v_mul_f64 v[160:161], v[136:137], v[148:149]
	v_mul_f64 v[132:133], v[132:133], v[140:141]
	;; [unrolled: 1-line block ×4, first 2 shown]
	v_fma_f64 v[180:181], v[142:143], v[158:159], -v[108:109]
	v_fma_f64 v[98:99], v[98:99], v[150:151], v[156:157]
	v_fma_f64 v[108:109], v[74:75], s[6:7], v[120:121]
	v_add_f64 v[120:121], v[162:163], v[164:165]
	v_fma_f64 v[184:185], v[64:65], v[146:147], v[160:161]
	v_fma_f64 v[132:133], v[60:61], v[138:139], v[132:133]
	;; [unrolled: 1-line block ×3, first 2 shown]
	v_fma_f64 v[136:137], v[146:147], v[136:137], -v[148:149]
	v_add_f64 v[64:65], v[178:179], v[180:181]
	v_add_f64 v[112:113], v[174:175], v[68:69]
	v_fma_f64 v[94:95], v[42:43], s[16:17], v[172:173]
	v_add_f64 v[146:147], v[98:99], -v[184:185]
	v_add_f64 v[172:173], v[132:133], -v[98:99]
	;; [unrolled: 1-line block ×4, first 2 shown]
	v_fma_f64 v[64:65], v[64:65], -0.5, v[128:129]
	v_fma_f64 v[148:149], v[146:147], s[8:9], v[64:65]
	v_fma_f64 v[64:65], v[146:147], s[4:5], v[64:65]
	s_waitcnt vmcnt(0)
	v_lshlrev_b32_e32 v124, 2, v105
	v_lshlrev_b64 v[144:145], 4, v[124:125]
	v_add_co_u32_e32 v124, vcc, s12, v144
	v_addc_co_u32_e32 v144, vcc, v104, v145, vcc
	v_add_co_u32_e32 v104, vcc, s0, v124
	v_addc_co_u32_e32 v105, vcc, 0, v144, vcc
	global_load_dwordx4 v[156:159], v[104:105], off offset:1952
	v_add_co_u32_e32 v104, vcc, s1, v124
	v_addc_co_u32_e32 v105, vcc, 0, v144, vcc
	global_load_dwordx4 v[160:163], v[104:105], off offset:48
	global_load_dwordx4 v[164:167], v[104:105], off offset:32
	;; [unrolled: 1-line block ×3, first 2 shown]
	v_fma_f64 v[104:105], v[74:75], s[8:9], v[182:183]
	v_fma_f64 v[144:145], v[150:151], v[154:155], -v[152:153]
	v_fma_f64 v[74:75], v[74:75], s[4:5], v[182:183]
	v_add_f64 v[150:151], v[132:133], -v[186:187]
	v_fma_f64 v[60:61], v[122:123], s[14:15], v[104:105]
	v_add_f64 v[138:139], v[144:145], -v[178:179]
	v_add_f64 v[142:143], v[144:145], v[136:137]
	v_fma_f64 v[104:105], v[42:43], s[16:17], v[108:109]
	v_fma_f64 v[42:43], v[122:123], s[6:7], v[74:75]
	;; [unrolled: 1-line block ×4, first 2 shown]
	v_add_f64 v[60:61], v[112:113], v[176:177]
	v_add_f64 v[122:123], v[138:139], v[140:141]
	v_fma_f64 v[138:139], v[150:151], s[6:7], v[148:149]
	v_add_f64 v[148:149], v[132:133], v[186:187]
	v_fma_f64 v[74:75], v[142:143], -0.5, v[128:129]
	v_add_f64 v[140:141], v[178:179], -v[144:145]
	v_add_f64 v[142:143], v[180:181], -v[136:137]
	;; [unrolled: 1-line block ×3, first 2 shown]
	v_add_f64 v[112:113], v[60:61], v[118:119]
	v_add_f64 v[60:61], v[178:179], v[128:129]
	v_fma_f64 v[108:109], v[120:121], s[16:17], v[42:43]
	v_fma_f64 v[128:129], v[148:149], -0.5, v[66:67]
	v_fma_f64 v[42:43], v[150:151], s[4:5], v[74:75]
	v_fma_f64 v[74:75], v[150:151], s[8:9], v[74:75]
	;; [unrolled: 1-line block ×3, first 2 shown]
	v_add_f64 v[138:139], v[98:99], v[184:185]
	v_add_f64 v[120:121], v[140:141], v[142:143]
	;; [unrolled: 1-line block ×3, first 2 shown]
	v_add_f64 v[140:141], v[98:99], -v[132:133]
	v_add_f64 v[142:143], v[184:185], -v[186:187]
	;; [unrolled: 1-line block ×3, first 2 shown]
	v_fma_f64 v[144:145], v[176:177], s[4:5], v[128:129]
	v_fma_f64 v[122:123], v[122:123], s[16:17], v[64:65]
	v_fma_f64 v[64:65], v[146:147], s[14:15], v[74:75]
	v_fma_f64 v[182:183], v[138:139], -0.5, v[66:67]
	v_add_f64 v[74:75], v[136:137], v[60:61]
	v_add_co_u32_e32 v60, vcc, s0, v116
	v_addc_co_u32_e32 v61, vcc, 0, v117, vcc
	global_load_dwordx4 v[136:139], v[60:61], off offset:1952
	v_add_co_u32_e32 v60, vcc, s1, v116
	v_addc_co_u32_e32 v61, vcc, 0, v117, vcc
	v_fma_f64 v[42:43], v[146:147], s[6:7], v[42:43]
	v_add_f64 v[152:153], v[140:141], v[142:143]
	v_fma_f64 v[154:155], v[178:179], s[14:15], v[144:145]
	global_load_dwordx4 v[140:143], v[60:61], off offset:48
	global_load_dwordx4 v[144:147], v[60:61], off offset:32
	global_load_dwordx4 v[148:151], v[60:61], off offset:16
	v_fma_f64 v[128:129], v[176:177], s[8:9], v[128:129]
	v_fma_f64 v[188:189], v[178:179], s[8:9], v[182:183]
	;; [unrolled: 1-line block ×3, first 2 shown]
	v_add_f64 v[64:65], v[180:181], v[74:75]
	v_fma_f64 v[42:43], v[120:121], s[16:17], v[42:43]
	v_add_f64 v[66:67], v[66:67], v[132:133]
	v_fma_f64 v[116:117], v[152:153], s[16:17], v[154:155]
	;; [unrolled: 2-line block ×3, first 2 shown]
	v_fma_f64 v[180:181], v[176:177], s[14:15], v[188:189]
	ds_read2_b64 v[172:175], v192 offset0:4 offset1:59
	v_fma_f64 v[178:179], v[178:179], s[4:5], v[182:183]
	s_mov_b32 s1, 0x551c979b
	v_add_f64 v[66:67], v[98:99], v[66:67]
	v_fma_f64 v[120:121], v[152:153], s[16:17], v[128:129]
	ds_read2_b64 v[152:155], v190 offset0:2 offset1:57
	s_waitcnt vmcnt(7)
	v_mul_f64 v[128:129], v[58:59], v[158:159]
	s_waitcnt vmcnt(6)
	v_mul_f64 v[132:133], v[36:37], v[162:163]
	;; [unrolled: 2-line block ×4, first 2 shown]
	v_mul_f64 v[166:167], v[134:135], v[166:167]
	v_add_f64 v[66:67], v[66:67], v[184:185]
	v_fma_f64 v[182:183], v[156:157], v[130:131], -v[128:129]
	s_waitcnt lgkmcnt(0)
	v_mul_f64 v[128:129], v[154:155], v[170:171]
	v_fma_f64 v[170:171], v[160:161], v[174:175], -v[132:133]
	v_fma_f64 v[134:135], v[164:165], v[134:135], -v[190:191]
	;; [unrolled: 1-line block ×3, first 2 shown]
	v_mul_f64 v[132:133], v[130:131], v[158:159]
	v_mul_f64 v[154:155], v[174:175], v[162:163]
	v_fma_f64 v[164:165], v[62:63], v[164:165], v[166:167]
	v_fma_f64 v[162:163], v[40:41], v[168:169], v[128:129]
	;; [unrolled: 1-line block ×3, first 2 shown]
	v_add_f64 v[40:41], v[182:183], v[170:171]
	ds_read2_b64 v[128:131], v194 offset1:55
	v_add_f64 v[158:159], v[134:135], -v[170:171]
	v_fma_f64 v[156:157], v[58:59], v[156:157], v[132:133]
	v_fma_f64 v[160:161], v[36:37], v[160:161], v[154:155]
	v_add_f64 v[36:37], v[98:99], v[134:135]
	v_add_f64 v[154:155], v[162:163], -v[164:165]
	v_fma_f64 v[58:59], v[74:75], s[16:17], v[62:63]
	s_waitcnt lgkmcnt(0)
	v_fma_f64 v[132:133], v[40:41], -0.5, v[130:131]
	v_fma_f64 v[40:41], v[74:75], s[16:17], v[180:181]
	v_add_f64 v[74:75], v[98:99], -v[182:183]
	v_add_f64 v[62:63], v[66:67], v[186:187]
	v_add_f64 v[166:167], v[156:157], -v[160:161]
	v_fma_f64 v[36:37], v[36:37], -0.5, v[130:131]
	v_add_f64 v[174:175], v[182:183], -v[98:99]
	v_add_f64 v[176:177], v[170:171], -v[134:135]
	v_fma_f64 v[66:67], v[154:155], s[8:9], v[132:133]
	v_fma_f64 v[132:133], v[154:155], s[4:5], v[132:133]
	v_add_f64 v[74:75], v[74:75], v[158:159]
	v_add_f64 v[130:131], v[182:183], v[130:131]
	;; [unrolled: 1-line block ×3, first 2 shown]
	v_fma_f64 v[158:159], v[166:167], s[4:5], v[36:37]
	v_add_f64 v[180:181], v[98:99], -v[134:135]
	v_add_f64 v[174:175], v[174:175], v[176:177]
	v_fma_f64 v[66:67], v[166:167], s[6:7], v[66:67]
	v_fma_f64 v[178:179], v[166:167], s[14:15], v[132:133]
	;; [unrolled: 1-line block ×3, first 2 shown]
	v_add_f64 v[98:99], v[98:99], v[130:131]
	v_fma_f64 v[168:169], v[168:169], -0.5, v[18:19]
	v_fma_f64 v[158:159], v[154:155], s[6:7], v[158:159]
	v_add_f64 v[130:131], v[162:163], -v[156:157]
	v_add_f64 v[166:167], v[164:165], -v[160:161]
	v_fma_f64 v[132:133], v[74:75], s[16:17], v[66:67]
	v_add_f64 v[176:177], v[182:183], -v[170:171]
	v_fma_f64 v[66:67], v[154:155], s[14:15], v[36:37]
	v_fma_f64 v[36:37], v[74:75], s[16:17], v[178:179]
	v_add_f64 v[98:99], v[134:135], v[98:99]
	v_fma_f64 v[74:75], v[174:175], s[16:17], v[158:159]
	v_add_f64 v[158:159], v[162:163], v[164:165]
	;; [unrolled: 2-line block ×3, first 2 shown]
	v_fma_f64 v[166:167], v[180:181], s[8:9], v[168:169]
	v_fma_f64 v[154:155], v[174:175], s[16:17], v[66:67]
	s_waitcnt vmcnt(0)
	v_mul_f64 v[178:179], v[38:39], v[150:151]
	v_mul_f64 v[150:151], v[152:153], v[150:151]
	v_add_f64 v[66:67], v[156:157], -v[162:163]
	v_fma_f64 v[174:175], v[158:159], -0.5, v[18:19]
	v_add_f64 v[158:159], v[170:171], v[98:99]
	v_mul_f64 v[98:99], v[32:33], v[138:139]
	v_mul_f64 v[170:171], v[34:35], v[142:143]
	v_fma_f64 v[130:131], v[176:177], s[14:15], v[182:183]
	v_mul_f64 v[182:183], v[44:45], v[146:147]
	v_mul_f64 v[146:147], v[72:73], v[146:147]
	v_add_f64 v[168:169], v[160:161], -v[164:165]
	v_fma_f64 v[166:167], v[176:177], s[6:7], v[166:167]
	v_fma_f64 v[178:179], v[148:149], v[152:153], -v[178:179]
	v_fma_f64 v[98:99], v[136:137], v[76:77], -v[98:99]
	;; [unrolled: 1-line block ×3, first 2 shown]
	v_mul_f64 v[76:77], v[76:77], v[138:139]
	v_mul_f64 v[138:139], v[172:173], v[142:143]
	v_fma_f64 v[142:143], v[144:145], v[72:73], -v[182:183]
	v_fma_f64 v[38:39], v[38:39], v[148:149], v[150:151]
	v_fma_f64 v[44:45], v[44:45], v[144:145], v[146:147]
	v_add_f64 v[18:19], v[18:19], v[156:157]
	v_fma_f64 v[130:131], v[134:135], s[16:17], v[130:131]
	v_add_f64 v[144:145], v[98:99], v[170:171]
	v_add_f64 v[66:67], v[66:67], v[168:169]
	v_fma_f64 v[168:169], v[176:177], s[8:9], v[174:175]
	v_fma_f64 v[146:147], v[176:177], s[4:5], v[174:175]
	;; [unrolled: 1-line block ×4, first 2 shown]
	v_add_f64 v[136:137], v[178:179], v[142:143]
	v_fma_f64 v[34:35], v[134:135], s[16:17], v[166:167]
	v_add_f64 v[134:135], v[38:39], -v[44:45]
	v_fma_f64 v[138:139], v[144:145], -0.5, v[128:129]
	v_add_f64 v[18:19], v[162:163], v[18:19]
	v_fma_f64 v[72:73], v[180:181], s[14:15], v[168:169]
	v_fma_f64 v[140:141], v[180:181], s[6:7], v[146:147]
	v_add_f64 v[144:145], v[32:33], -v[76:77]
	v_fma_f64 v[136:137], v[136:137], -0.5, v[128:129]
	v_add_f64 v[146:147], v[178:179], -v[98:99]
	v_add_f64 v[148:149], v[142:143], -v[170:171]
	v_fma_f64 v[150:151], v[134:135], s[8:9], v[138:139]
	v_fma_f64 v[138:139], v[134:135], s[4:5], v[138:139]
	v_add_f64 v[156:157], v[98:99], -v[178:179]
	v_add_f64 v[162:163], v[170:171], -v[142:143]
	v_add_f64 v[18:19], v[18:19], v[164:165]
	v_add_f64 v[128:129], v[98:99], v[128:129]
	v_fma_f64 v[72:73], v[66:67], s[16:17], v[72:73]
	v_fma_f64 v[166:167], v[144:145], s[4:5], v[136:137]
	;; [unrolled: 1-line block ×3, first 2 shown]
	v_add_f64 v[66:67], v[146:147], v[148:149]
	v_fma_f64 v[140:141], v[144:145], s[6:7], v[150:151]
	v_fma_f64 v[138:139], v[144:145], s[14:15], v[138:139]
	v_add_f64 v[150:151], v[32:33], v[76:77]
	v_add_f64 v[146:147], v[156:157], v[162:163]
	;; [unrolled: 1-line block ×5, first 2 shown]
	v_fma_f64 v[148:149], v[134:135], s[6:7], v[166:167]
	v_fma_f64 v[144:145], v[144:145], s[8:9], v[136:137]
	;; [unrolled: 1-line block ×4, first 2 shown]
	v_fma_f64 v[66:67], v[150:151], -0.5, v[16:17]
	v_add_f64 v[138:139], v[178:179], -v[142:143]
	v_add_f64 v[128:129], v[142:143], v[128:129]
	v_add_f64 v[98:99], v[98:99], -v[170:171]
	v_fma_f64 v[142:143], v[160:161], -0.5, v[16:17]
	v_fma_f64 v[140:141], v[146:147], s[16:17], v[148:149]
	v_fma_f64 v[134:135], v[134:135], s[14:15], v[144:145]
	v_add_f64 v[144:145], v[38:39], -v[32:33]
	v_add_f64 v[16:17], v[16:17], v[32:33]
	v_add_f64 v[148:149], v[44:45], -v[76:77]
	v_fma_f64 v[150:151], v[138:139], s[4:5], v[66:67]
	v_fma_f64 v[66:67], v[138:139], s[8:9], v[66:67]
	v_add_f64 v[32:33], v[32:33], -v[38:39]
	v_add_f64 v[160:161], v[76:77], -v[44:45]
	v_fma_f64 v[162:163], v[98:99], s[8:9], v[142:143]
	v_fma_f64 v[142:143], v[98:99], s[4:5], v[142:143]
	v_add_f64 v[16:17], v[38:39], v[16:17]
	v_add_f64 v[38:39], v[144:145], v[148:149]
	v_fma_f64 v[150:151], v[98:99], s[14:15], v[150:151]
	v_fma_f64 v[66:67], v[98:99], s[6:7], v[66:67]
	;; [unrolled: 1-line block ×3, first 2 shown]
	v_add_f64 v[32:33], v[32:33], v[160:161]
	v_fma_f64 v[98:99], v[138:139], s[14:15], v[162:163]
	v_fma_f64 v[142:143], v[138:139], s[6:7], v[142:143]
	v_add_f64 v[44:45], v[16:17], v[44:45]
	v_add_f64 v[148:149], v[170:171], v[128:129]
	v_fma_f64 v[16:17], v[38:39], s[16:17], v[150:151]
	v_fma_f64 v[134:135], v[38:39], s[16:17], v[66:67]
	v_mul_hi_u32 v38, v193, s1
	v_mov_b32_e32 v39, s11
	v_fma_f64 v[138:139], v[32:33], s[16:17], v[98:99]
	v_fma_f64 v[142:143], v[32:33], s[16:17], v[142:143]
	v_lshrrev_b32_e32 v32, 7, v38
	v_mul_u32_u24_e32 v32, 0x181, v32
	v_sub_u32_e32 v38, v193, v32
	v_lshlrev_b64 v[32:33], 4, v[126:127]
	v_add_f64 v[146:147], v[44:45], v[76:77]
	v_add_co_u32_e32 v44, vcc, s10, v32
	v_addc_co_u32_e32 v39, vcc, v39, v33, vcc
	v_lshlrev_b64 v[32:33], 4, v[224:225]
	v_add_co_u32_e32 v44, vcc, v44, v32
	v_addc_co_u32_e32 v45, vcc, v39, v33, vcc
	v_lshlrev_b32_e32 v32, 4, v38
	v_add_co_u32_e32 v32, vcc, v44, v32
	v_addc_co_u32_e32 v33, vcc, 0, v45, vcc
	v_add_co_u32_e32 v38, vcc, s0, v32
	v_addc_co_u32_e32 v39, vcc, 0, v33, vcc
	global_store_dwordx4 v[38:39], v[142:145], off offset:2064
	v_add_co_u32_e32 v38, vcc, s2, v32
	v_addc_co_u32_e32 v39, vcc, 0, v33, vcc
	s_movk_i32 s0, 0x4000
	global_store_dwordx4 v[38:39], v[134:137], off offset:32
	v_add_co_u32_e32 v38, vcc, s0, v32
	v_addc_co_u32_e32 v39, vcc, 0, v33, vcc
	global_store_dwordx4 v[38:39], v[16:19], off offset:2096
	s_movk_i32 s0, 0x6000
	v_add_u32_e32 v18, 55, v193
	v_mul_hi_u32 v19, v18, s1
	v_add_co_u32_e32 v16, vcc, s0, v32
	v_addc_co_u32_e32 v17, vcc, 0, v33, vcc
	global_store_dwordx4 v[16:17], v[138:141], off offset:64
	v_lshrrev_b32_e32 v16, 7, v19
	v_mul_u32_u24_e32 v17, 0x181, v16
	v_sub_u32_e32 v17, v18, v17
	s_movk_i32 s0, 0x785
	v_mad_u32_u24 v124, v16, s0, v17
	v_lshlrev_b64 v[16:17], 4, v[124:125]
	global_store_dwordx4 v[32:33], v[146:149], off
	v_add_co_u32_e32 v16, vcc, v44, v16
	v_addc_co_u32_e32 v17, vcc, v45, v17, vcc
	global_store_dwordx4 v[16:17], v[156:159], off
	v_add_u32_e32 v16, 0x181, v124
	v_mov_b32_e32 v17, v125
	v_lshlrev_b64 v[16:17], 4, v[16:17]
	v_add_u32_e32 v18, 0x6e, v193
	v_add_co_u32_e32 v16, vcc, v44, v16
	v_addc_co_u32_e32 v17, vcc, v45, v17, vcc
	global_store_dwordx4 v[16:17], v[152:155], off
	v_add_u32_e32 v16, 0x302, v124
	v_mov_b32_e32 v17, v125
	v_lshlrev_b64 v[16:17], 4, v[16:17]
	v_mul_hi_u32 v19, v18, s1
	v_add_co_u32_e32 v16, vcc, v44, v16
	v_addc_co_u32_e32 v17, vcc, v45, v17, vcc
	global_store_dwordx4 v[16:17], v[34:37], off
	v_add_u32_e32 v16, 0x483, v124
	v_mov_b32_e32 v17, v125
	v_lshlrev_b64 v[16:17], 4, v[16:17]
	v_add_u32_e32 v124, 0x604, v124
	v_add_co_u32_e32 v16, vcc, v44, v16
	v_addc_co_u32_e32 v17, vcc, v45, v17, vcc
	global_store_dwordx4 v[16:17], v[130:133], off
	v_lshlrev_b64 v[16:17], 4, v[124:125]
	v_add_co_u32_e32 v16, vcc, v44, v16
	v_addc_co_u32_e32 v17, vcc, v45, v17, vcc
	global_store_dwordx4 v[16:17], v[72:75], off
	v_lshrrev_b32_e32 v16, 7, v19
	v_mul_u32_u24_e32 v17, 0x181, v16
	v_sub_u32_e32 v17, v18, v17
	v_mad_u32_u24 v124, v16, s0, v17
	v_lshlrev_b64 v[16:17], 4, v[124:125]
	v_add_u32_e32 v18, 0xa5, v193
	v_add_co_u32_e32 v16, vcc, v44, v16
	v_addc_co_u32_e32 v17, vcc, v45, v17, vcc
	global_store_dwordx4 v[16:17], v[62:65], off
	v_add_u32_e32 v16, 0x181, v124
	v_mov_b32_e32 v17, v125
	v_lshlrev_b64 v[16:17], 4, v[16:17]
	v_mul_hi_u32 v19, v18, s1
	v_add_co_u32_e32 v16, vcc, v44, v16
	v_addc_co_u32_e32 v17, vcc, v45, v17, vcc
	global_store_dwordx4 v[16:17], v[58:61], off
	v_add_u32_e32 v16, 0x302, v124
	v_mov_b32_e32 v17, v125
	v_lshlrev_b64 v[16:17], 4, v[16:17]
	v_add_co_u32_e32 v16, vcc, v44, v16
	v_addc_co_u32_e32 v17, vcc, v45, v17, vcc
	global_store_dwordx4 v[16:17], v[120:123], off
	v_add_u32_e32 v16, 0x483, v124
	v_mov_b32_e32 v17, v125
	v_lshlrev_b64 v[16:17], 4, v[16:17]
	v_add_u32_e32 v124, 0x604, v124
	v_add_co_u32_e32 v16, vcc, v44, v16
	v_addc_co_u32_e32 v17, vcc, v45, v17, vcc
	global_store_dwordx4 v[16:17], v[116:119], off
	v_lshlrev_b64 v[16:17], 4, v[124:125]
	v_add_co_u32_e32 v16, vcc, v44, v16
	v_addc_co_u32_e32 v17, vcc, v45, v17, vcc
	global_store_dwordx4 v[16:17], v[40:43], off
	v_lshrrev_b32_e32 v16, 7, v19
	v_mul_u32_u24_e32 v17, 0x181, v16
	v_sub_u32_e32 v17, v18, v17
	v_mad_u32_u24 v124, v16, s0, v17
	v_lshlrev_b64 v[16:17], 4, v[124:125]
	v_add_u32_e32 v18, 0xdc, v193
	v_add_co_u32_e32 v16, vcc, v44, v16
	v_addc_co_u32_e32 v17, vcc, v45, v17, vcc
	global_store_dwordx4 v[16:17], v[112:115], off
	v_add_u32_e32 v16, 0x181, v124
	v_mov_b32_e32 v17, v125
	v_lshlrev_b64 v[16:17], 4, v[16:17]
	v_mul_hi_u32 v19, v18, s1
	v_add_co_u32_e32 v16, vcc, v44, v16
	v_addc_co_u32_e32 v17, vcc, v45, v17, vcc
	global_store_dwordx4 v[16:17], v[108:111], off
	v_add_u32_e32 v16, 0x302, v124
	v_mov_b32_e32 v17, v125
	v_lshlrev_b64 v[16:17], 4, v[16:17]
	;; [unrolled: 33-line block ×4, first 2 shown]
	v_add_co_u32_e32 v16, vcc, v44, v16
	v_addc_co_u32_e32 v17, vcc, v45, v17, vcc
	global_store_dwordx4 v[16:17], v[46:49], off
	v_add_u32_e32 v16, 0x483, v124
	v_mov_b32_e32 v17, v125
	v_lshlrev_b64 v[16:17], 4, v[16:17]
	v_add_u32_e32 v124, 0x604, v124
	v_add_co_u32_e32 v16, vcc, v44, v16
	v_addc_co_u32_e32 v17, vcc, v45, v17, vcc
	global_store_dwordx4 v[16:17], v[28:31], off
	v_lshlrev_b64 v[16:17], 4, v[124:125]
	v_add_co_u32_e32 v16, vcc, v44, v16
	v_addc_co_u32_e32 v17, vcc, v45, v17, vcc
	global_store_dwordx4 v[16:17], v[24:27], off
	v_lshrrev_b32_e32 v16, 7, v19
	v_mul_u32_u24_e32 v17, 0x181, v16
	v_sub_u32_e32 v17, v18, v17
	v_mad_u32_u24 v124, v16, s0, v17
	v_lshlrev_b64 v[16:17], 4, v[124:125]
	v_add_co_u32_e32 v16, vcc, v44, v16
	v_addc_co_u32_e32 v17, vcc, v45, v17, vcc
	global_store_dwordx4 v[16:17], v[20:23], off
	v_add_u32_e32 v16, 0x181, v124
	v_mov_b32_e32 v17, v125
	v_lshlrev_b64 v[16:17], 4, v[16:17]
	v_add_co_u32_e32 v16, vcc, v44, v16
	v_addc_co_u32_e32 v17, vcc, v45, v17, vcc
	global_store_dwordx4 v[16:17], v[12:15], off
	s_nop 0
	v_add_u32_e32 v12, 0x302, v124
	v_mov_b32_e32 v13, v125
	v_lshlrev_b64 v[12:13], 4, v[12:13]
	v_add_co_u32_e32 v12, vcc, v44, v12
	v_addc_co_u32_e32 v13, vcc, v45, v13, vcc
	global_store_dwordx4 v[12:13], v[8:11], off
	s_nop 0
	v_add_u32_e32 v8, 0x483, v124
	v_mov_b32_e32 v9, v125
	v_lshlrev_b64 v[8:9], 4, v[8:9]
	v_add_u32_e32 v124, 0x604, v124
	v_add_co_u32_e32 v8, vcc, v44, v8
	v_addc_co_u32_e32 v9, vcc, v45, v9, vcc
	global_store_dwordx4 v[8:9], v[4:7], off
	s_nop 0
	v_lshlrev_b64 v[4:5], 4, v[124:125]
	v_add_co_u32_e32 v4, vcc, v44, v4
	v_addc_co_u32_e32 v5, vcc, v45, v5, vcc
	global_store_dwordx4 v[4:5], v[0:3], off
.LBB0_23:
	s_endpgm
	.section	.rodata,"a",@progbits
	.p2align	6, 0x0
	.amdhsa_kernel fft_rtc_back_len1925_factors_7_11_5_5_wgs_55_tpt_55_halfLds_dp_op_CI_CI_unitstride_sbrr_dirReg
		.amdhsa_group_segment_fixed_size 0
		.amdhsa_private_segment_fixed_size 92
		.amdhsa_kernarg_size 104
		.amdhsa_user_sgpr_count 6
		.amdhsa_user_sgpr_private_segment_buffer 1
		.amdhsa_user_sgpr_dispatch_ptr 0
		.amdhsa_user_sgpr_queue_ptr 0
		.amdhsa_user_sgpr_kernarg_segment_ptr 1
		.amdhsa_user_sgpr_dispatch_id 0
		.amdhsa_user_sgpr_flat_scratch_init 0
		.amdhsa_user_sgpr_private_segment_size 0
		.amdhsa_uses_dynamic_stack 0
		.amdhsa_system_sgpr_private_segment_wavefront_offset 1
		.amdhsa_system_sgpr_workgroup_id_x 1
		.amdhsa_system_sgpr_workgroup_id_y 0
		.amdhsa_system_sgpr_workgroup_id_z 0
		.amdhsa_system_sgpr_workgroup_info 0
		.amdhsa_system_vgpr_workitem_id 0
		.amdhsa_next_free_vgpr 256
		.amdhsa_next_free_sgpr 44
		.amdhsa_reserve_vcc 1
		.amdhsa_reserve_flat_scratch 0
		.amdhsa_float_round_mode_32 0
		.amdhsa_float_round_mode_16_64 0
		.amdhsa_float_denorm_mode_32 3
		.amdhsa_float_denorm_mode_16_64 3
		.amdhsa_dx10_clamp 1
		.amdhsa_ieee_mode 1
		.amdhsa_fp16_overflow 0
		.amdhsa_exception_fp_ieee_invalid_op 0
		.amdhsa_exception_fp_denorm_src 0
		.amdhsa_exception_fp_ieee_div_zero 0
		.amdhsa_exception_fp_ieee_overflow 0
		.amdhsa_exception_fp_ieee_underflow 0
		.amdhsa_exception_fp_ieee_inexact 0
		.amdhsa_exception_int_div_zero 0
	.end_amdhsa_kernel
	.text
.Lfunc_end0:
	.size	fft_rtc_back_len1925_factors_7_11_5_5_wgs_55_tpt_55_halfLds_dp_op_CI_CI_unitstride_sbrr_dirReg, .Lfunc_end0-fft_rtc_back_len1925_factors_7_11_5_5_wgs_55_tpt_55_halfLds_dp_op_CI_CI_unitstride_sbrr_dirReg
                                        ; -- End function
	.section	.AMDGPU.csdata,"",@progbits
; Kernel info:
; codeLenInByte = 30928
; NumSgprs: 48
; NumVgprs: 256
; ScratchSize: 92
; MemoryBound: 1
; FloatMode: 240
; IeeeMode: 1
; LDSByteSize: 0 bytes/workgroup (compile time only)
; SGPRBlocks: 5
; VGPRBlocks: 63
; NumSGPRsForWavesPerEU: 48
; NumVGPRsForWavesPerEU: 256
; Occupancy: 1
; WaveLimiterHint : 1
; COMPUTE_PGM_RSRC2:SCRATCH_EN: 1
; COMPUTE_PGM_RSRC2:USER_SGPR: 6
; COMPUTE_PGM_RSRC2:TRAP_HANDLER: 0
; COMPUTE_PGM_RSRC2:TGID_X_EN: 1
; COMPUTE_PGM_RSRC2:TGID_Y_EN: 0
; COMPUTE_PGM_RSRC2:TGID_Z_EN: 0
; COMPUTE_PGM_RSRC2:TIDIG_COMP_CNT: 0
	.type	__hip_cuid_f2a87c057ec9ecae,@object ; @__hip_cuid_f2a87c057ec9ecae
	.section	.bss,"aw",@nobits
	.globl	__hip_cuid_f2a87c057ec9ecae
__hip_cuid_f2a87c057ec9ecae:
	.byte	0                               ; 0x0
	.size	__hip_cuid_f2a87c057ec9ecae, 1

	.ident	"AMD clang version 19.0.0git (https://github.com/RadeonOpenCompute/llvm-project roc-6.4.0 25133 c7fe45cf4b819c5991fe208aaa96edf142730f1d)"
	.section	".note.GNU-stack","",@progbits
	.addrsig
	.addrsig_sym __hip_cuid_f2a87c057ec9ecae
	.amdgpu_metadata
---
amdhsa.kernels:
  - .args:
      - .actual_access:  read_only
        .address_space:  global
        .offset:         0
        .size:           8
        .value_kind:     global_buffer
      - .offset:         8
        .size:           8
        .value_kind:     by_value
      - .actual_access:  read_only
        .address_space:  global
        .offset:         16
        .size:           8
        .value_kind:     global_buffer
      - .actual_access:  read_only
        .address_space:  global
        .offset:         24
        .size:           8
        .value_kind:     global_buffer
      - .actual_access:  read_only
        .address_space:  global
        .offset:         32
        .size:           8
        .value_kind:     global_buffer
      - .offset:         40
        .size:           8
        .value_kind:     by_value
      - .actual_access:  read_only
        .address_space:  global
        .offset:         48
        .size:           8
        .value_kind:     global_buffer
      - .actual_access:  read_only
        .address_space:  global
        .offset:         56
        .size:           8
        .value_kind:     global_buffer
      - .offset:         64
        .size:           4
        .value_kind:     by_value
      - .actual_access:  read_only
        .address_space:  global
        .offset:         72
        .size:           8
        .value_kind:     global_buffer
      - .actual_access:  read_only
        .address_space:  global
        .offset:         80
        .size:           8
        .value_kind:     global_buffer
      - .actual_access:  read_only
        .address_space:  global
        .offset:         88
        .size:           8
        .value_kind:     global_buffer
      - .actual_access:  write_only
        .address_space:  global
        .offset:         96
        .size:           8
        .value_kind:     global_buffer
    .group_segment_fixed_size: 0
    .kernarg_segment_align: 8
    .kernarg_segment_size: 104
    .language:       OpenCL C
    .language_version:
      - 2
      - 0
    .max_flat_workgroup_size: 55
    .name:           fft_rtc_back_len1925_factors_7_11_5_5_wgs_55_tpt_55_halfLds_dp_op_CI_CI_unitstride_sbrr_dirReg
    .private_segment_fixed_size: 92
    .sgpr_count:     48
    .sgpr_spill_count: 0
    .symbol:         fft_rtc_back_len1925_factors_7_11_5_5_wgs_55_tpt_55_halfLds_dp_op_CI_CI_unitstride_sbrr_dirReg.kd
    .uniform_work_group_size: 1
    .uses_dynamic_stack: false
    .vgpr_count:     256
    .vgpr_spill_count: 25
    .wavefront_size: 64
amdhsa.target:   amdgcn-amd-amdhsa--gfx906
amdhsa.version:
  - 1
  - 2
...

	.end_amdgpu_metadata
